;; amdgpu-corpus repo=ROCm/rocFFT kind=compiled arch=gfx1030 opt=O3
	.text
	.amdgcn_target "amdgcn-amd-amdhsa--gfx1030"
	.amdhsa_code_object_version 6
	.protected	fft_rtc_back_len320_factors_10_4_4_2_wgs_64_tpt_16_halfLds_half_ip_CI_unitstride_sbrr_R2C_dirReg ; -- Begin function fft_rtc_back_len320_factors_10_4_4_2_wgs_64_tpt_16_halfLds_half_ip_CI_unitstride_sbrr_R2C_dirReg
	.globl	fft_rtc_back_len320_factors_10_4_4_2_wgs_64_tpt_16_halfLds_half_ip_CI_unitstride_sbrr_R2C_dirReg
	.p2align	8
	.type	fft_rtc_back_len320_factors_10_4_4_2_wgs_64_tpt_16_halfLds_half_ip_CI_unitstride_sbrr_R2C_dirReg,@function
fft_rtc_back_len320_factors_10_4_4_2_wgs_64_tpt_16_halfLds_half_ip_CI_unitstride_sbrr_R2C_dirReg: ; @fft_rtc_back_len320_factors_10_4_4_2_wgs_64_tpt_16_halfLds_half_ip_CI_unitstride_sbrr_R2C_dirReg
; %bb.0:
	s_clause 0x2
	s_load_dwordx4 s[8:11], s[4:5], 0x0
	s_load_dwordx2 s[2:3], s[4:5], 0x50
	s_load_dwordx2 s[12:13], s[4:5], 0x18
	v_lshrrev_b32_e32 v22, 4, v0
	v_mov_b32_e32 v3, 0
	v_mov_b32_e32 v1, 0
	;; [unrolled: 1-line block ×3, first 2 shown]
	v_lshl_or_b32 v5, s6, 2, v22
	v_mov_b32_e32 v6, v3
	s_waitcnt lgkmcnt(0)
	v_cmp_lt_u64_e64 s0, s[10:11], 2
	s_and_b32 vcc_lo, exec_lo, s0
	s_cbranch_vccnz .LBB0_8
; %bb.1:
	s_load_dwordx2 s[0:1], s[4:5], 0x10
	v_mov_b32_e32 v1, 0
	s_add_u32 s6, s12, 8
	v_mov_b32_e32 v2, 0
	s_addc_u32 s7, s13, 0
	s_mov_b64 s[16:17], 1
	s_waitcnt lgkmcnt(0)
	s_add_u32 s14, s0, 8
	s_addc_u32 s15, s1, 0
.LBB0_2:                                ; =>This Inner Loop Header: Depth=1
	s_load_dwordx2 s[18:19], s[14:15], 0x0
                                        ; implicit-def: $vgpr13_vgpr14
	s_mov_b32 s0, exec_lo
	s_waitcnt lgkmcnt(0)
	v_or_b32_e32 v4, s19, v6
	v_cmpx_ne_u64_e32 0, v[3:4]
	s_xor_b32 s1, exec_lo, s0
	s_cbranch_execz .LBB0_4
; %bb.3:                                ;   in Loop: Header=BB0_2 Depth=1
	v_cvt_f32_u32_e32 v4, s18
	v_cvt_f32_u32_e32 v7, s19
	s_sub_u32 s0, 0, s18
	s_subb_u32 s20, 0, s19
	v_fmac_f32_e32 v4, 0x4f800000, v7
	v_rcp_f32_e32 v4, v4
	v_mul_f32_e32 v4, 0x5f7ffffc, v4
	v_mul_f32_e32 v7, 0x2f800000, v4
	v_trunc_f32_e32 v7, v7
	v_fmac_f32_e32 v4, 0xcf800000, v7
	v_cvt_u32_f32_e32 v7, v7
	v_cvt_u32_f32_e32 v4, v4
	v_mul_lo_u32 v8, s0, v7
	v_mul_hi_u32 v9, s0, v4
	v_mul_lo_u32 v10, s20, v4
	v_add_nc_u32_e32 v8, v9, v8
	v_mul_lo_u32 v9, s0, v4
	v_add_nc_u32_e32 v8, v8, v10
	v_mul_hi_u32 v10, v4, v9
	v_mul_lo_u32 v11, v4, v8
	v_mul_hi_u32 v12, v4, v8
	v_mul_hi_u32 v13, v7, v9
	v_mul_lo_u32 v9, v7, v9
	v_mul_hi_u32 v14, v7, v8
	v_mul_lo_u32 v8, v7, v8
	v_add_co_u32 v10, vcc_lo, v10, v11
	v_add_co_ci_u32_e32 v11, vcc_lo, 0, v12, vcc_lo
	v_add_co_u32 v9, vcc_lo, v10, v9
	v_add_co_ci_u32_e32 v9, vcc_lo, v11, v13, vcc_lo
	v_add_co_ci_u32_e32 v10, vcc_lo, 0, v14, vcc_lo
	v_add_co_u32 v8, vcc_lo, v9, v8
	v_add_co_ci_u32_e32 v9, vcc_lo, 0, v10, vcc_lo
	v_add_co_u32 v4, vcc_lo, v4, v8
	v_add_co_ci_u32_e32 v7, vcc_lo, v7, v9, vcc_lo
	v_mul_hi_u32 v8, s0, v4
	v_mul_lo_u32 v10, s20, v4
	v_mul_lo_u32 v9, s0, v7
	v_add_nc_u32_e32 v8, v8, v9
	v_mul_lo_u32 v9, s0, v4
	v_add_nc_u32_e32 v8, v8, v10
	v_mul_hi_u32 v10, v4, v9
	v_mul_lo_u32 v11, v4, v8
	v_mul_hi_u32 v12, v4, v8
	v_mul_hi_u32 v13, v7, v9
	v_mul_lo_u32 v9, v7, v9
	v_mul_hi_u32 v14, v7, v8
	v_mul_lo_u32 v8, v7, v8
	v_add_co_u32 v10, vcc_lo, v10, v11
	v_add_co_ci_u32_e32 v11, vcc_lo, 0, v12, vcc_lo
	v_add_co_u32 v9, vcc_lo, v10, v9
	v_add_co_ci_u32_e32 v9, vcc_lo, v11, v13, vcc_lo
	v_add_co_ci_u32_e32 v10, vcc_lo, 0, v14, vcc_lo
	v_add_co_u32 v8, vcc_lo, v9, v8
	v_add_co_ci_u32_e32 v9, vcc_lo, 0, v10, vcc_lo
	v_add_co_u32 v4, vcc_lo, v4, v8
	v_add_co_ci_u32_e32 v11, vcc_lo, v7, v9, vcc_lo
	v_mul_hi_u32 v13, v5, v4
	v_mad_u64_u32 v[9:10], null, v6, v4, 0
	v_mad_u64_u32 v[7:8], null, v5, v11, 0
	;; [unrolled: 1-line block ×3, first 2 shown]
	v_add_co_u32 v4, vcc_lo, v13, v7
	v_add_co_ci_u32_e32 v7, vcc_lo, 0, v8, vcc_lo
	v_add_co_u32 v4, vcc_lo, v4, v9
	v_add_co_ci_u32_e32 v4, vcc_lo, v7, v10, vcc_lo
	v_add_co_ci_u32_e32 v7, vcc_lo, 0, v12, vcc_lo
	v_add_co_u32 v4, vcc_lo, v4, v11
	v_add_co_ci_u32_e32 v9, vcc_lo, 0, v7, vcc_lo
	v_mul_lo_u32 v10, s19, v4
	v_mad_u64_u32 v[7:8], null, s18, v4, 0
	v_mul_lo_u32 v11, s18, v9
	v_sub_co_u32 v7, vcc_lo, v5, v7
	v_add3_u32 v8, v8, v11, v10
	v_sub_nc_u32_e32 v10, v6, v8
	v_subrev_co_ci_u32_e64 v10, s0, s19, v10, vcc_lo
	v_add_co_u32 v11, s0, v4, 2
	v_add_co_ci_u32_e64 v12, s0, 0, v9, s0
	v_sub_co_u32 v13, s0, v7, s18
	v_sub_co_ci_u32_e32 v8, vcc_lo, v6, v8, vcc_lo
	v_subrev_co_ci_u32_e64 v10, s0, 0, v10, s0
	v_cmp_le_u32_e32 vcc_lo, s18, v13
	v_cmp_eq_u32_e64 s0, s19, v8
	v_cndmask_b32_e64 v13, 0, -1, vcc_lo
	v_cmp_le_u32_e32 vcc_lo, s19, v10
	v_cndmask_b32_e64 v14, 0, -1, vcc_lo
	v_cmp_le_u32_e32 vcc_lo, s18, v7
	;; [unrolled: 2-line block ×3, first 2 shown]
	v_cndmask_b32_e64 v15, 0, -1, vcc_lo
	v_cmp_eq_u32_e32 vcc_lo, s19, v10
	v_cndmask_b32_e64 v7, v15, v7, s0
	v_cndmask_b32_e32 v10, v14, v13, vcc_lo
	v_add_co_u32 v13, vcc_lo, v4, 1
	v_add_co_ci_u32_e32 v14, vcc_lo, 0, v9, vcc_lo
	v_cmp_ne_u32_e32 vcc_lo, 0, v10
	v_cndmask_b32_e32 v8, v14, v12, vcc_lo
	v_cndmask_b32_e32 v10, v13, v11, vcc_lo
	v_cmp_ne_u32_e32 vcc_lo, 0, v7
	v_cndmask_b32_e32 v14, v9, v8, vcc_lo
	v_cndmask_b32_e32 v13, v4, v10, vcc_lo
.LBB0_4:                                ;   in Loop: Header=BB0_2 Depth=1
	s_andn2_saveexec_b32 s0, s1
	s_cbranch_execz .LBB0_6
; %bb.5:                                ;   in Loop: Header=BB0_2 Depth=1
	v_cvt_f32_u32_e32 v4, s18
	s_sub_i32 s1, 0, s18
	v_mov_b32_e32 v14, v3
	v_rcp_iflag_f32_e32 v4, v4
	v_mul_f32_e32 v4, 0x4f7ffffe, v4
	v_cvt_u32_f32_e32 v4, v4
	v_mul_lo_u32 v7, s1, v4
	v_mul_hi_u32 v7, v4, v7
	v_add_nc_u32_e32 v4, v4, v7
	v_mul_hi_u32 v4, v5, v4
	v_mul_lo_u32 v7, v4, s18
	v_add_nc_u32_e32 v8, 1, v4
	v_sub_nc_u32_e32 v7, v5, v7
	v_subrev_nc_u32_e32 v9, s18, v7
	v_cmp_le_u32_e32 vcc_lo, s18, v7
	v_cndmask_b32_e32 v7, v7, v9, vcc_lo
	v_cndmask_b32_e32 v4, v4, v8, vcc_lo
	v_cmp_le_u32_e32 vcc_lo, s18, v7
	v_add_nc_u32_e32 v8, 1, v4
	v_cndmask_b32_e32 v13, v4, v8, vcc_lo
.LBB0_6:                                ;   in Loop: Header=BB0_2 Depth=1
	s_or_b32 exec_lo, exec_lo, s0
	s_load_dwordx2 s[0:1], s[6:7], 0x0
	v_mul_lo_u32 v4, v14, s18
	v_mul_lo_u32 v9, v13, s19
	v_mad_u64_u32 v[7:8], null, v13, s18, 0
	s_add_u32 s16, s16, 1
	s_addc_u32 s17, s17, 0
	s_add_u32 s6, s6, 8
	s_addc_u32 s7, s7, 0
	;; [unrolled: 2-line block ×3, first 2 shown]
	v_add3_u32 v4, v8, v9, v4
	v_sub_co_u32 v5, vcc_lo, v5, v7
	v_sub_co_ci_u32_e32 v4, vcc_lo, v6, v4, vcc_lo
	s_waitcnt lgkmcnt(0)
	v_mul_lo_u32 v6, s1, v5
	v_mul_lo_u32 v4, s0, v4
	v_mad_u64_u32 v[1:2], null, s0, v5, v[1:2]
	v_cmp_ge_u64_e64 s0, s[16:17], s[10:11]
	s_and_b32 vcc_lo, exec_lo, s0
	v_add3_u32 v2, v6, v2, v4
	s_cbranch_vccnz .LBB0_9
; %bb.7:                                ;   in Loop: Header=BB0_2 Depth=1
	v_mov_b32_e32 v5, v13
	v_mov_b32_e32 v6, v14
	s_branch .LBB0_2
.LBB0_8:
	v_mov_b32_e32 v14, v6
	v_mov_b32_e32 v13, v5
.LBB0_9:
	s_lshl_b64 s[0:1], s[10:11], 3
	v_and_b32_e32 v0, 15, v0
	s_add_u32 s0, s12, s0
	s_addc_u32 s1, s13, s1
	s_load_dwordx2 s[0:1], s[0:1], 0x0
	s_load_dwordx2 s[4:5], s[4:5], 0x20
	v_or_b32_e32 v4, 16, v0
	v_or_b32_e32 v12, 0x50, v0
	;; [unrolled: 1-line block ×8, first 2 shown]
	s_waitcnt lgkmcnt(0)
	v_mul_lo_u32 v5, s0, v14
	v_mul_lo_u32 v7, s1, v13
	v_mad_u64_u32 v[2:3], null, s0, v13, v[1:2]
	v_cmp_gt_u64_e32 vcc_lo, s[4:5], v[13:14]
	v_cmp_le_u64_e64 s0, s[4:5], v[13:14]
	v_or_b32_e32 v14, 0x90, v0
	v_add3_u32 v3, v7, v3, v5
	s_and_saveexec_b32 s1, s0
	s_xor_b32 s0, exec_lo, s1
	s_cbranch_execz .LBB0_11
; %bb.10:
	v_mov_b32_e32 v1, 0
	v_or_b32_e32 v4, 16, v0
	v_or_b32_e32 v12, 0x50, v0
	;; [unrolled: 1-line block ×9, first 2 shown]
	v_mov_b32_e32 v5, v1
	v_mov_b32_e32 v21, v1
	;; [unrolled: 1-line block ×9, first 2 shown]
.LBB0_11:
	s_or_saveexec_b32 s1, s0
	v_mul_u32_u24_e32 v22, 0x141, v22
	v_lshlrev_b64 v[2:3], 2, v[2:3]
	v_lshlrev_b32_e32 v26, 2, v0
	v_lshlrev_b32_e32 v31, 2, v22
	s_xor_b32 exec_lo, exec_lo, s1
	s_cbranch_execz .LBB0_13
; %bb.12:
	v_add_co_u32 v1, s0, s2, v2
	v_add_co_ci_u32_e64 v5, s0, s3, v3, s0
	v_add3_u32 v44, 0, v31, v26
	v_add_co_u32 v21, s0, v1, v26
	v_add_co_ci_u32_e64 v22, s0, 0, v5, s0
	v_mov_b32_e32 v1, 0
	v_add_nc_u32_e32 v45, 0x400, v44
	s_clause 0x13
	global_load_dword v23, v[21:22], off
	global_load_dword v24, v[21:22], off offset:64
	global_load_dword v25, v[21:22], off offset:128
	;; [unrolled: 1-line block ×19, first 2 shown]
	s_waitcnt vmcnt(18)
	ds_write2_b32 v44, v23, v24 offset1:16
	s_waitcnt vmcnt(16)
	ds_write2_b32 v44, v25, v27 offset0:32 offset1:48
	s_waitcnt vmcnt(14)
	ds_write2_b32 v44, v28, v29 offset0:64 offset1:80
	s_waitcnt vmcnt(12)
	ds_write2_b32 v44, v30, v32 offset0:96 offset1:112
	s_waitcnt vmcnt(10)
	ds_write2_b32 v44, v33, v34 offset0:128 offset1:144
	s_waitcnt vmcnt(8)
	ds_write2_b32 v44, v35, v36 offset0:160 offset1:176
	s_waitcnt vmcnt(6)
	ds_write2_b32 v44, v37, v38 offset0:192 offset1:208
	s_waitcnt vmcnt(4)
	ds_write2_b32 v44, v39, v40 offset0:224 offset1:240
	s_waitcnt vmcnt(2)
	ds_write2_b32 v45, v41, v42 offset1:16
	s_waitcnt vmcnt(0)
	ds_write2_b32 v45, v43, v22 offset0:32 offset1:48
	v_mov_b32_e32 v5, v1
	v_mov_b32_e32 v21, v1
	;; [unrolled: 1-line block ×9, first 2 shown]
.LBB0_13:
	s_or_b32 exec_lo, exec_lo, s1
	v_add3_u32 v28, 0, v26, v31
	s_waitcnt lgkmcnt(0)
	s_barrier
	buffer_gl0_inv
	v_add_nc_u32_e32 v30, 0, v31
	ds_read2_b32 v[33:34], v28 offset0:144 offset1:160
	ds_read2_b32 v[24:25], v28 offset0:208 offset1:224
	;; [unrolled: 1-line block ×4, first 2 shown]
	v_add_nc_u32_e32 v29, 0x400, v28
	v_add_nc_u32_e32 v32, 0x200, v28
	v_cmp_gt_u32_e64 s0, 10, v0
	ds_read2_b32 v[37:38], v29 offset0:16 offset1:32
	ds_read2_b32 v[39:40], v28 offset0:176 offset1:192
	ds_read2_b32 v[41:42], v28 offset0:48 offset1:64
	ds_read2_b32 v[43:44], v32 offset0:112 offset1:128
	ds_read2_b32 v[45:46], v28 offset0:112 offset1:128
	ds_read_b32 v81, v28 offset:1216
	s_waitcnt lgkmcnt(8)
	v_add_f16_e32 v55, v34, v25
	v_add_f16_sdwa v68, v34, v25 dst_sel:DWORD dst_unused:UNUSED_PAD src0_sel:WORD_1 src1_sel:WORD_1
	s_waitcnt lgkmcnt(6)
	v_pk_add_f16 v27, v22, v35
	v_lshrrev_b32_e32 v75, 16, v23
	v_sub_f16_e32 v57, v36, v34
	s_waitcnt lgkmcnt(5)
	v_sub_f16_sdwa v65, v36, v38 dst_sel:DWORD dst_unused:UNUSED_PAD src0_sel:WORD_1 src1_sel:WORD_1
	v_sub_f16_sdwa v70, v36, v34 dst_sel:DWORD dst_unused:UNUSED_PAD src0_sel:WORD_1 src1_sel:WORD_1
	v_pk_add_f16 v27, v27, v33
	v_sub_f16_e32 v71, v36, v38
	v_sub_f16_e32 v76, v38, v25
	v_sub_f16_sdwa v77, v38, v25 dst_sel:DWORD dst_unused:UNUSED_PAD src0_sel:WORD_1 src1_sel:WORD_1
	v_fma_f16 v68, -0.5, v68, v75
	v_pk_add_f16 v67, v27, v24
	v_add_nc_u32_e32 v27, v30, v26
	v_fma_f16 v55, -0.5, v55, v23
	v_sub_f16_sdwa v56, v34, v25 dst_sel:DWORD dst_unused:UNUSED_PAD src0_sel:WORD_1 src1_sel:WORD_1
	v_sub_f16_e32 v69, v34, v25
	v_add_f16_e32 v57, v57, v76
	ds_read_b32 v72, v27
	v_add_f16_e32 v70, v70, v77
	v_fmamk_f16 v76, v71, 0x3b9c, v68
	v_fmamk_f16 v77, v65, 0xbb9c, v55
	s_waitcnt lgkmcnt(2)
	v_add_f16_e32 v79, v46, v40
	v_add_f16_sdwa v80, v46, v40 dst_sel:DWORD dst_unused:UNUSED_PAD src0_sel:WORD_1 src1_sel:WORD_1
	v_sub_f16_e32 v73, v44, v40
	v_sub_f16_e32 v74, v42, v46
	v_fmac_f16_e32 v76, 0x38b4, v69
	v_fmac_f16_e32 v77, 0xb8b4, v56
	v_sub_f16_sdwa v83, v42, v44 dst_sel:DWORD dst_unused:UNUSED_PAD src0_sel:WORD_1 src1_sel:WORD_1
	v_sub_f16_e32 v84, v42, v44
	v_add_f16_e32 v73, v74, v73
	v_sub_f16_sdwa v74, v42, v46 dst_sel:DWORD dst_unused:UNUSED_PAD src0_sel:WORD_1 src1_sel:WORD_1
	v_sub_f16_sdwa v78, v44, v40 dst_sel:DWORD dst_unused:UNUSED_PAD src0_sel:WORD_1 src1_sel:WORD_1
	v_fmac_f16_e32 v76, 0x34f2, v70
	v_fmac_f16_e32 v77, 0x34f2, v57
	v_sub_f16_sdwa v86, v46, v40 dst_sel:DWORD dst_unused:UNUSED_PAD src0_sel:WORD_1 src1_sel:WORD_1
	v_sub_f16_e32 v88, v46, v40
	v_pk_add_f16 v59, v23, v36
	s_waitcnt lgkmcnt(0)
	v_lshrrev_b32_e32 v82, 16, v72
	v_fma_f16 v79, -0.5, v79, v72
	v_add_f16_e32 v74, v74, v78
	v_mul_f16_e32 v78, 0xb8b4, v76
	v_mul_f16_e32 v89, 0x38b4, v77
	v_fma_f16 v80, -0.5, v80, v82
	v_fmamk_f16 v85, v83, 0xbb9c, v79
	v_pk_add_f16 v59, v59, v34
	v_fmac_f16_e32 v78, 0x3a79, v77
	v_fmac_f16_e32 v89, 0x3a79, v76
	v_fmamk_f16 v87, v84, 0x3b9c, v80
	v_fmac_f16_e32 v85, 0xb8b4, v86
	v_pk_add_f16 v77, v72, v42
	v_sub_f16_e32 v58, v34, v36
	v_add_f16_e32 v66, v36, v38
	v_fmac_f16_e32 v87, 0x38b4, v88
	v_fmac_f16_e32 v85, 0x34f2, v73
	v_sub_f16_sdwa v34, v34, v36 dst_sel:DWORD dst_unused:UNUSED_PAD src0_sel:WORD_1 src1_sel:WORD_1
	v_add_f16_sdwa v36, v36, v38 dst_sel:DWORD dst_unused:UNUSED_PAD src0_sel:WORD_1 src1_sel:WORD_1
	v_pk_add_f16 v59, v59, v25
	v_fmac_f16_e32 v87, 0x34f2, v74
	v_add_f16_e32 v90, v85, v78
	v_add_f16_e32 v92, v42, v44
	v_pk_add_f16 v77, v77, v46
	v_add_f16_e32 v47, v33, v24
	v_add_f16_e32 v91, v87, v89
	v_sub_f16_sdwa v48, v33, v24 dst_sel:DWORD dst_unused:UNUSED_PAD src0_sel:WORD_1 src1_sel:WORD_1
	v_sub_f16_e32 v49, v35, v33
	v_sub_f16_e32 v50, v33, v35
	v_add_f16_sdwa v51, v33, v24 dst_sel:DWORD dst_unused:UNUSED_PAD src0_sel:WORD_1 src1_sel:WORD_1
	v_sub_f16_e32 v52, v33, v24
	v_sub_f16_sdwa v53, v35, v33 dst_sel:DWORD dst_unused:UNUSED_PAD src0_sel:WORD_1 src1_sel:WORD_1
	v_sub_f16_sdwa v54, v33, v35 dst_sel:DWORD dst_unused:UNUSED_PAD src0_sel:WORD_1 src1_sel:WORD_1
	v_sub_f16_sdwa v60, v35, v37 dst_sel:DWORD dst_unused:UNUSED_PAD src0_sel:WORD_1 src1_sel:WORD_1
	v_sub_f16_e32 v61, v37, v24
	v_add_f16_e32 v62, v35, v37
	v_sub_f16_e32 v63, v24, v37
	v_sub_f16_e32 v33, v35, v37
	v_sub_f16_sdwa v64, v37, v24 dst_sel:DWORD dst_unused:UNUSED_PAD src0_sel:WORD_1 src1_sel:WORD_1
	v_add_f16_sdwa v35, v35, v37 dst_sel:DWORD dst_unused:UNUSED_PAD src0_sel:WORD_1 src1_sel:WORD_1
	v_sub_f16_sdwa v24, v24, v37 dst_sel:DWORD dst_unused:UNUSED_PAD src0_sel:WORD_1 src1_sel:WORD_1
	v_sub_f16_e32 v76, v25, v38
	v_sub_f16_sdwa v25, v25, v38 dst_sel:DWORD dst_unused:UNUSED_PAD src0_sel:WORD_1 src1_sel:WORD_1
	v_pk_add_f16 v37, v67, v37
	v_pk_add_f16 v38, v59, v38
	v_pack_b32_f16 v59, v90, v91
	v_fma_f16 v67, -0.5, v92, v72
	v_pk_add_f16 v72, v77, v40
	v_sub_f16_e32 v90, v40, v44
	v_sub_f16_e32 v91, v46, v42
	v_add_f16_sdwa v93, v42, v44 dst_sel:DWORD dst_unused:UNUSED_PAD src0_sel:WORD_1 src1_sel:WORD_1
	v_sub_f16_sdwa v42, v46, v42 dst_sel:DWORD dst_unused:UNUSED_PAD src0_sel:WORD_1 src1_sel:WORD_1
	v_sub_f16_sdwa v40, v40, v44 dst_sel:DWORD dst_unused:UNUSED_PAD src0_sel:WORD_1 src1_sel:WORD_1
	v_fmac_f16_e32 v75, -0.5, v36
	v_fma_f16 v23, -0.5, v66, v23
	v_fmac_f16_e32 v82, -0.5, v93
	v_add_f16_e32 v25, v34, v25
	v_add_f16_e32 v36, v42, v40
	v_fmamk_f16 v40, v69, 0xbb9c, v75
	v_fmac_f16_e32 v75, 0x3b9c, v69
	v_fmamk_f16 v42, v56, 0x3b9c, v23
	v_fmac_f16_e32 v23, 0xbb9c, v56
	v_fmamk_f16 v92, v86, 0x3b9c, v67
	v_fmac_f16_e32 v40, 0x38b4, v71
	v_fmac_f16_e32 v75, 0xb8b4, v71
	v_fmac_f16_e32 v67, 0xbb9c, v86
	v_fmamk_f16 v46, v88, 0xbb9c, v82
	v_fmac_f16_e32 v82, 0x3b9c, v88
	v_add_f16_e32 v34, v58, v76
	v_fmac_f16_e32 v42, 0xb8b4, v65
	v_fmac_f16_e32 v23, 0x38b4, v65
	;; [unrolled: 1-line block ×4, first 2 shown]
	v_add_f16_e32 v90, v91, v90
	v_fmac_f16_e32 v92, 0xb8b4, v83
	v_fmac_f16_e32 v67, 0x38b4, v83
	;; [unrolled: 1-line block ×6, first 2 shown]
	v_mul_f16_e32 v25, 0xbb9c, v75
	v_mul_f16_e32 v34, 0xb4f2, v75
	;; [unrolled: 1-line block ×4, first 2 shown]
	v_fmac_f16_e32 v92, 0x34f2, v90
	v_fmac_f16_e32 v67, 0x34f2, v90
	;; [unrolled: 1-line block ×8, first 2 shown]
	v_mul_u32_u24_e32 v77, 10, v0
	v_pk_add_f16 v23, v72, v44
	v_add_f16_e32 v36, v67, v25
	v_add_f16_e32 v42, v82, v34
	;; [unrolled: 1-line block ×4, first 2 shown]
	v_lshl_add_u32 v77, v77, 2, v30
	v_pack_b32_f16 v36, v36, v42
	s_barrier
	v_pack_b32_f16 v42, v44, v66
	v_fma_f16 v44, -0.5, v47, v22
	buffer_gl0_inv
	v_fma_f16 v47, -0.5, v62, v22
	v_lshrrev_b32_e32 v22, 16, v22
	ds_write2_b32 v77, v42, v36 offset0:2 offset1:3
	v_fmamk_f16 v42, v60, 0xbb9c, v44
	v_fmac_f16_e32 v44, 0x3b9c, v60
	v_add_f16_e32 v36, v49, v61
	v_fmamk_f16 v49, v48, 0x3b9c, v47
	v_fmac_f16_e32 v47, 0xbb9c, v48
	v_fmac_f16_e32 v42, 0xb8b4, v48
	;; [unrolled: 1-line block ×3, first 2 shown]
	v_add_f16_e32 v48, v50, v63
	v_fma_f16 v50, -0.5, v51, v22
	v_fmac_f16_e32 v22, -0.5, v35
	v_fmac_f16_e32 v42, 0x34f2, v36
	v_fmac_f16_e32 v44, 0x34f2, v36
	v_add_f16_e32 v35, v53, v64
	v_fmamk_f16 v36, v33, 0x3b9c, v50
	v_fmac_f16_e32 v50, 0xbb9c, v33
	v_fmac_f16_e32 v49, 0xb8b4, v60
	;; [unrolled: 1-line block ×3, first 2 shown]
	v_add_f16_e32 v24, v54, v24
	v_fmac_f16_e32 v36, 0x38b4, v52
	v_fmac_f16_e32 v50, 0xb8b4, v52
	;; [unrolled: 1-line block ×4, first 2 shown]
	v_fmamk_f16 v48, v52, 0xbb9c, v22
	v_fmac_f16_e32 v36, 0x34f2, v35
	v_fmac_f16_e32 v50, 0x34f2, v35
	v_add_f16_e32 v35, v39, v43
	v_fmac_f16_e32 v22, 0x3b9c, v52
	v_sub_f16_e32 v51, v81, v43
	v_sub_f16_e32 v52, v45, v39
	v_add_f16_e32 v53, v45, v81
	v_fma_f16 v35, -0.5, v35, v41
	v_sub_f16_sdwa v54, v45, v81 dst_sel:DWORD dst_unused:UNUSED_PAD src0_sel:WORD_1 src1_sel:WORD_1
	v_fmac_f16_e32 v48, 0x38b4, v33
	v_fmac_f16_e32 v22, 0xb8b4, v33
	v_add_f16_e32 v33, v52, v51
	v_fma_f16 v51, -0.5, v53, v41
	v_sub_f16_sdwa v52, v39, v43 dst_sel:DWORD dst_unused:UNUSED_PAD src0_sel:WORD_1 src1_sel:WORD_1
	v_fmamk_f16 v53, v54, 0xbb9c, v35
	v_fmac_f16_e32 v35, 0x3b9c, v54
	v_pk_add_f16 v72, v23, v38
	v_sub_f16_e32 v60, v39, v45
	v_fmamk_f16 v61, v52, 0x3b9c, v51
	v_fmac_f16_e32 v53, 0xb8b4, v52
	v_fmac_f16_e32 v35, 0x38b4, v52
	ds_write2_b32 v77, v72, v59 offset1:1
	v_sub_f16_e32 v59, v43, v81
	v_fmac_f16_e32 v51, 0xbb9c, v52
	v_fmac_f16_e32 v48, 0x34f2, v24
	;; [unrolled: 1-line block ×5, first 2 shown]
	v_pk_add_f16 v24, v41, v45
	v_lshrrev_b32_e32 v33, 16, v41
	v_add_f16_sdwa v41, v39, v43 dst_sel:DWORD dst_unused:UNUSED_PAD src0_sel:WORD_1 src1_sel:WORD_1
	v_add_f16_e32 v52, v60, v59
	v_fmac_f16_e32 v61, 0xb8b4, v54
	v_fmac_f16_e32 v51, 0x38b4, v54
	v_add_f16_sdwa v54, v45, v81 dst_sel:DWORD dst_unused:UNUSED_PAD src0_sel:WORD_1 src1_sel:WORD_1
	v_sub_f16_e32 v59, v45, v81
	v_fma_f16 v41, -0.5, v41, v33
	v_fmac_f16_e32 v61, 0x34f2, v52
	v_fmac_f16_e32 v51, 0x34f2, v52
	v_pk_add_f16 v24, v24, v39
	v_sub_f16_e32 v52, v39, v43
	v_sub_f16_sdwa v60, v45, v39 dst_sel:DWORD dst_unused:UNUSED_PAD src0_sel:WORD_1 src1_sel:WORD_1
	v_sub_f16_sdwa v39, v39, v45 dst_sel:DWORD dst_unused:UNUSED_PAD src0_sel:WORD_1 src1_sel:WORD_1
	v_fmac_f16_e32 v33, -0.5, v54
	v_sub_f16_sdwa v45, v81, v43 dst_sel:DWORD dst_unused:UNUSED_PAD src0_sel:WORD_1 src1_sel:WORD_1
	v_fmamk_f16 v54, v59, 0x3b9c, v41
	v_pk_add_f16 v24, v24, v43
	v_sub_f16_sdwa v43, v43, v81 dst_sel:DWORD dst_unused:UNUSED_PAD src0_sel:WORD_1 src1_sel:WORD_1
	v_fmamk_f16 v62, v52, 0xbb9c, v33
	v_add_f16_e32 v45, v60, v45
	v_fmac_f16_e32 v54, 0x38b4, v52
	v_fmac_f16_e32 v41, 0xbb9c, v59
	;; [unrolled: 1-line block ×3, first 2 shown]
	v_add_f16_e32 v39, v39, v43
	v_fmac_f16_e32 v62, 0x38b4, v59
	v_fmac_f16_e32 v54, 0x34f2, v45
	;; [unrolled: 1-line block ×4, first 2 shown]
	v_pk_add_f16 v43, v24, v81
	v_fmac_f16_e32 v62, 0x34f2, v39
	v_mul_f16_e32 v24, 0xb8b4, v54
	v_mul_f16_e32 v52, 0x38b4, v53
	v_fmac_f16_e32 v41, 0x34f2, v45
	v_fmac_f16_e32 v33, 0x34f2, v39
	;; [unrolled: 1-line block ×3, first 2 shown]
	v_mul_f16_e32 v45, 0xbb9c, v62
	v_fmac_f16_e32 v24, 0x3a79, v53
	v_fmac_f16_e32 v52, 0x3a79, v54
	v_mul_f16_e32 v53, 0xbb9c, v33
	v_mul_f16_e32 v54, 0xb8b4, v41
	v_fmac_f16_e32 v55, 0x3b9c, v65
	v_fmac_f16_e32 v68, 0xb8b4, v69
	;; [unrolled: 1-line block ×3, first 2 shown]
	v_mul_f16_e32 v33, 0xb4f2, v33
	v_fmac_f16_e32 v53, 0xb4f2, v51
	v_fmac_f16_e32 v54, 0xba79, v35
	;; [unrolled: 1-line block ×7, first 2 shown]
	v_add_f16_e32 v51, v49, v45
	v_sub_f16_e32 v45, v49, v45
	v_add_f16_e32 v49, v47, v53
	v_sub_f16_e32 v47, v47, v53
	;; [unrolled: 2-line block ×3, first 2 shown]
	v_fmac_f16_e32 v79, 0x38b4, v86
	v_fmac_f16_e32 v80, 0xb8b4, v88
	;; [unrolled: 1-line block ×3, first 2 shown]
	v_mul_f16_e32 v54, 0xb8b4, v68
	v_mul_f16_e32 v56, 0xba79, v68
	v_mul_f16_e32 v39, 0x34f2, v62
	v_mul_f16_e32 v41, 0xba79, v41
	v_fmac_f16_e32 v79, 0x34f2, v73
	v_fmac_f16_e32 v80, 0x34f2, v74
	;; [unrolled: 1-line block ×6, first 2 shown]
	v_add_f16_e32 v35, v42, v24
	v_sub_f16_e32 v42, v42, v24
	v_add_f16_e32 v24, v36, v52
	v_sub_f16_e32 v55, v92, v58
	;; [unrolled: 2-line block ×7, first 2 shown]
	v_sub_f16_e32 v50, v85, v78
	v_sub_f16_e32 v59, v87, v89
	;; [unrolled: 1-line block ×6, first 2 shown]
	v_mul_i32_i24_e32 v25, 10, v4
	v_pk_add_f16 v23, v23, v38 neg_lo:[0,1] neg_hi:[0,1]
	v_pack_b32_f16 v38, v58, v46
	v_pack_b32_f16 v24, v35, v24
	v_add_nc_u32_e32 v35, -10, v0
	v_pack_b32_f16 v40, v55, v40
	v_pack_b32_f16 v46, v50, v59
	;; [unrolled: 1-line block ×4, first 2 shown]
	v_lshl_add_u32 v25, v25, 2, v30
	v_pk_add_f16 v60, v37, v43
	ds_write2_b32 v77, v38, v23 offset0:4 offset1:5
	ds_write2_b32 v77, v46, v40 offset0:6 offset1:7
	;; [unrolled: 1-line block ×3, first 2 shown]
	ds_write2_b32 v25, v60, v24 offset1:1
	v_cndmask_b32_e64 v24, v35, v0, s0
	v_and_b32_e32 v34, 0xff, v4
	v_pk_add_f16 v37, v37, v43 neg_lo:[0,1] neg_hi:[0,1]
	v_pack_b32_f16 v40, v53, v22
	v_mov_b32_e32 v23, 0
	v_mul_i32_i24_e32 v22, 3, v24
	v_mul_lo_u16 v43, 0xcd, v34
	v_pack_b32_f16 v35, v49, v48
	v_pack_b32_f16 v38, v51, v52
	;; [unrolled: 1-line block ×4, first 2 shown]
	v_lshlrev_b64 v[33:34], 2, v[22:23]
	v_lshrrev_b16 v22, 11, v43
	v_pack_b32_f16 v39, v45, v39
	v_pack_b32_f16 v41, v44, v41
	ds_write2_b32 v25, v38, v35 offset0:2 offset1:3
	ds_write2_b32 v25, v40, v37 offset0:4 offset1:5
	;; [unrolled: 1-line block ×4, first 2 shown]
	v_mul_lo_u16 v35, v22, 10
	v_and_b32_e32 v36, 0xff, v20
	v_add_co_u32 v33, s0, s8, v33
	v_add_co_ci_u32_e64 v34, s0, s9, v34, s0
	v_sub_nc_u16 v63, v4, v35
	v_mov_b32_e32 v35, 3
	v_mul_lo_u16 v36, 0xcd, v36
	s_waitcnt lgkmcnt(0)
	s_barrier
	buffer_gl0_inv
	global_load_dwordx3 v[42:44], v[33:34], off
	v_mul_u32_u24_sdwa v33, v63, v35 dst_sel:DWORD dst_unused:UNUSED_PAD src0_sel:BYTE_0 src1_sel:DWORD
	v_lshrrev_b16 v64, 11, v36
	v_and_b32_e32 v34, 0xff, v8
	v_lshl_add_u32 v38, v8, 2, v30
	v_lshl_add_u32 v39, v20, 2, v30
	v_lshlrev_b32_e32 v33, 2, v33
	v_mul_lo_u16 v36, v64, 10
	v_mad_i32_i24 v41, 0xffffffdc, v4, v25
	v_cmp_lt_u32_e64 s0, 9, v0
	v_lshlrev_b32_e32 v24, 2, v24
	global_load_dwordx3 v[45:47], v33, s[8:9]
	v_mul_lo_u16 v33, 0xcd, v34
	v_sub_nc_u16 v65, v20, v36
	v_and_b32_e32 v36, 0xff, v16
	v_cndmask_b32_e64 v91, 0, 0xa0, s0
	v_and_b32_e32 v22, 0xffff, v22
	v_lshrrev_b16 v66, 11, v33
	v_mul_u32_u24_sdwa v33, v65, v35 dst_sel:DWORD dst_unused:UNUSED_PAD src0_sel:BYTE_0 src1_sel:DWORD
	v_cmp_gt_u32_e64 s0, 40, v20
	v_mad_u32_u24 v22, 0xa0, v22, 0
	v_mul_lo_u16 v34, v66, 10
	v_lshlrev_b32_e32 v33, 2, v33
	v_sub_nc_u16 v67, v8, v34
	global_load_dwordx3 v[48:50], v33, s[8:9]
	v_mul_lo_u16 v33, 0xcd, v36
	v_lshl_add_u32 v36, v10, 2, v30
	v_mul_u32_u24_sdwa v34, v67, v35 dst_sel:DWORD dst_unused:UNUSED_PAD src0_sel:BYTE_0 src1_sel:DWORD
	v_lshrrev_b16 v68, 11, v33
	v_lshlrev_b32_e32 v33, 2, v34
	v_mul_lo_u16 v34, v68, 10
	global_load_dwordx3 v[51:53], v33, s[8:9]
	v_sub_nc_u16 v69, v16, v34
	v_lshl_add_u32 v34, v12, 2, v30
	v_mul_u32_u24_sdwa v33, v69, v35 dst_sel:DWORD dst_unused:UNUSED_PAD src0_sel:BYTE_0 src1_sel:DWORD
	v_lshl_add_u32 v35, v18, 2, v30
	v_lshlrev_b32_e32 v33, 2, v33
	global_load_dwordx3 v[54:56], v33, s[8:9]
	ds_read_b32 v37, v34
	ds_read2_b32 v[57:58], v28 offset0:160 offset1:176
	ds_read2_b32 v[59:60], v28 offset0:224 offset1:240
	v_lshl_add_u32 v33, v6, 2, v30
	ds_read_b32 v40, v33
	ds_read_b32 v25, v38
	;; [unrolled: 1-line block ×7, first 2 shown]
	ds_read2_b32 v[61:62], v29 offset1:16
	s_waitcnt lgkmcnt(10)
	v_lshrrev_b32_e32 v74, 16, v37
	s_waitcnt lgkmcnt(9)
	v_lshrrev_b32_e32 v76, 16, v57
	;; [unrolled: 2-line block ×3, first 2 shown]
	v_lshrrev_b32_e32 v79, 16, v58
	s_waitcnt lgkmcnt(5)
	v_lshrrev_b32_e32 v84, 16, v70
	s_waitcnt lgkmcnt(2)
	v_lshrrev_b32_e32 v88, 16, v73
	s_waitcnt vmcnt(4)
	v_mul_f16_sdwa v78, v42, v74 dst_sel:DWORD dst_unused:UNUSED_PAD src0_sel:WORD_1 src1_sel:DWORD
	v_mul_f16_sdwa v80, v42, v37 dst_sel:DWORD dst_unused:UNUSED_PAD src0_sel:WORD_1 src1_sel:DWORD
	v_mul_f16_sdwa v81, v57, v43 dst_sel:DWORD dst_unused:UNUSED_PAD src0_sel:DWORD src1_sel:WORD_1
	v_mul_f16_sdwa v82, v76, v43 dst_sel:DWORD dst_unused:UNUSED_PAD src0_sel:DWORD src1_sel:WORD_1
	v_fmac_f16_e32 v78, v42, v37
	v_mul_f16_sdwa v37, v60, v44 dst_sel:DWORD dst_unused:UNUSED_PAD src0_sel:DWORD src1_sel:WORD_1
	v_fma_f16 v74, v42, v74, -v80
	v_mul_f16_sdwa v80, v77, v44 dst_sel:DWORD dst_unused:UNUSED_PAD src0_sel:DWORD src1_sel:WORD_1
	v_fma_f16 v76, v76, v43, -v81
	v_lshrrev_b32_e32 v81, 16, v40
	v_fma_f16 v77, v77, v44, -v37
	s_waitcnt vmcnt(3)
	v_mul_f16_sdwa v83, v79, v46 dst_sel:DWORD dst_unused:UNUSED_PAD src0_sel:DWORD src1_sel:WORD_1
	v_fmac_f16_e32 v82, v57, v43
	v_fmac_f16_e32 v80, v60, v44
	v_mul_f16_sdwa v37, v40, v45 dst_sel:DWORD dst_unused:UNUSED_PAD src0_sel:DWORD src1_sel:WORD_1
	s_waitcnt lgkmcnt(0)
	v_lshrrev_b32_e32 v44, 16, v61
	ds_read2_b32 v[42:43], v28 offset0:192 offset1:208
	v_mul_f16_sdwa v57, v81, v45 dst_sel:DWORD dst_unused:UNUSED_PAD src0_sel:DWORD src1_sel:WORD_1
	v_fmac_f16_e32 v83, v58, v46
	v_mul_f16_sdwa v58, v58, v46 dst_sel:DWORD dst_unused:UNUSED_PAD src0_sel:DWORD src1_sel:WORD_1
	v_fma_f16 v60, v81, v45, -v37
	v_mul_f16_sdwa v37, v61, v47 dst_sel:DWORD dst_unused:UNUSED_PAD src0_sel:DWORD src1_sel:WORD_1
	v_mul_f16_sdwa v81, v44, v47 dst_sel:DWORD dst_unused:UNUSED_PAD src0_sel:DWORD src1_sel:WORD_1
	v_fmac_f16_e32 v57, v40, v45
	v_lshrrev_b32_e32 v40, 16, v62
	v_fma_f16 v46, v79, v46, -v58
	v_fma_f16 v58, v44, v47, -v37
	v_fmac_f16_e32 v81, v61, v47
	s_waitcnt vmcnt(2)
	v_mul_f16_sdwa v61, v84, v48 dst_sel:DWORD dst_unused:UNUSED_PAD src0_sel:DWORD src1_sel:WORD_1
	v_mul_f16_sdwa v37, v70, v48 dst_sel:DWORD dst_unused:UNUSED_PAD src0_sel:DWORD src1_sel:WORD_1
	ds_read2_b32 v[44:45], v29 offset0:32 offset1:48
	v_mul_f16_sdwa v47, v40, v50 dst_sel:DWORD dst_unused:UNUSED_PAD src0_sel:DWORD src1_sel:WORD_1
	v_mul_f16_sdwa v79, v62, v50 dst_sel:DWORD dst_unused:UNUSED_PAD src0_sel:DWORD src1_sel:WORD_1
	v_fmac_f16_e32 v61, v70, v48
	v_fma_f16 v48, v84, v48, -v37
	v_lshl_add_u32 v37, v14, 2, v30
	v_fmac_f16_e32 v47, v62, v50
	v_fma_f16 v50, v40, v50, -v79
	s_waitcnt lgkmcnt(1)
	v_lshrrev_b32_e32 v40, 16, v42
	v_lshrrev_b32_e32 v70, 16, v43
	ds_read_b32 v87, v37
	v_mul_f16_sdwa v62, v42, v49 dst_sel:DWORD dst_unused:UNUSED_PAD src0_sel:DWORD src1_sel:WORD_1
	v_lshrrev_b32_e32 v79, 16, v75
	v_mul_f16_sdwa v84, v40, v49 dst_sel:DWORD dst_unused:UNUSED_PAD src0_sel:DWORD src1_sel:WORD_1
	s_waitcnt vmcnt(1)
	v_mul_f16_sdwa v85, v70, v52 dst_sel:DWORD dst_unused:UNUSED_PAD src0_sel:DWORD src1_sel:WORD_1
	v_sub_f16_e32 v82, v73, v82
	v_fma_f16 v62, v40, v49, -v62
	v_mul_f16_sdwa v40, v75, v51 dst_sel:DWORD dst_unused:UNUSED_PAD src0_sel:DWORD src1_sel:WORD_1
	v_fmac_f16_e32 v84, v42, v49
	v_fmac_f16_e32 v85, v43, v52
	v_mul_f16_sdwa v42, v43, v52 dst_sel:DWORD dst_unused:UNUSED_PAD src0_sel:DWORD src1_sel:WORD_1
	s_waitcnt lgkmcnt(1)
	v_lshrrev_b32_e32 v43, 16, v44
	v_mul_f16_sdwa v86, v79, v51 dst_sel:DWORD dst_unused:UNUSED_PAD src0_sel:DWORD src1_sel:WORD_1
	v_fma_f16 v49, v79, v51, -v40
	v_lshl_add_u32 v40, v16, 2, v30
	v_fma_f16 v42, v70, v52, -v42
	v_mul_f16_sdwa v52, v44, v53 dst_sel:DWORD dst_unused:UNUSED_PAD src0_sel:DWORD src1_sel:WORD_1
	v_mul_f16_sdwa v70, v43, v53 dst_sel:DWORD dst_unused:UNUSED_PAD src0_sel:DWORD src1_sel:WORD_1
	v_sub_f16_e32 v76, v88, v76
	v_sub_f16_e32 v80, v78, v80
	;; [unrolled: 1-line block ×3, first 2 shown]
	v_fmac_f16_e32 v86, v75, v51
	v_lshrrev_b32_e32 v51, 16, v59
	v_lshrrev_b32_e32 v75, 16, v45
	v_fma_f16 v43, v43, v53, -v52
	ds_read_b32 v52, v40
	v_fmac_f16_e32 v70, v44, v53
	s_waitcnt lgkmcnt(1)
	v_lshrrev_b32_e32 v53, 16, v87
	v_fma_f16 v73, v73, 2.0, -v82
	v_fma_f16 v88, v88, 2.0, -v76
	;; [unrolled: 1-line block ×4, first 2 shown]
	s_waitcnt vmcnt(0)
	v_mul_f16_sdwa v79, v51, v55 dst_sel:DWORD dst_unused:UNUSED_PAD src0_sel:DWORD src1_sel:WORD_1
	v_mul_f16_sdwa v44, v75, v56 dst_sel:DWORD dst_unused:UNUSED_PAD src0_sel:DWORD src1_sel:WORD_1
	v_mul_f16_sdwa v89, v53, v54 dst_sel:DWORD dst_unused:UNUSED_PAD src0_sel:DWORD src1_sel:WORD_1
	v_mul_f16_sdwa v90, v87, v54 dst_sel:DWORD dst_unused:UNUSED_PAD src0_sel:DWORD src1_sel:WORD_1
	v_sub_f16_e32 v78, v73, v78
	v_sub_f16_e32 v74, v88, v74
	v_add_f16_e32 v77, v82, v77
	v_sub_f16_e32 v80, v76, v80
	v_fmac_f16_e32 v79, v59, v55
	v_mul_f16_sdwa v59, v59, v55 dst_sel:DWORD dst_unused:UNUSED_PAD src0_sel:DWORD src1_sel:WORD_1
	v_fmac_f16_e32 v44, v45, v56
	v_mul_f16_sdwa v45, v45, v56 dst_sel:DWORD dst_unused:UNUSED_PAD src0_sel:DWORD src1_sel:WORD_1
	v_fmac_f16_e32 v89, v87, v54
	v_fma_f16 v53, v53, v54, -v90
	v_add_nc_u32_e32 v54, 0, v91
	v_fma_f16 v73, v73, 2.0, -v78
	v_fma_f16 v87, v88, 2.0, -v74
	;; [unrolled: 1-line block ×4, first 2 shown]
	v_fma_f16 v51, v51, v55, -v59
	v_fma_f16 v45, v75, v56, -v45
	v_add3_u32 v24, v54, v24, v31
	v_pack_b32_f16 v54, v73, v87
	v_pack_b32_f16 v55, v82, v76
	v_lshrrev_b32_e32 v56, 16, v72
	s_waitcnt lgkmcnt(0)
	s_barrier
	buffer_gl0_inv
	ds_write2_b32 v24, v54, v55 offset1:10
	v_sub_f16_e32 v55, v72, v83
	v_sub_f16_e32 v46, v56, v46
	;; [unrolled: 1-line block ×4, first 2 shown]
	v_pack_b32_f16 v54, v78, v74
	v_fma_f16 v72, v72, 2.0, -v55
	v_fma_f16 v56, v56, 2.0, -v46
	;; [unrolled: 1-line block ×4, first 2 shown]
	v_pack_b32_f16 v73, v77, v80
	v_add_f16_e32 v58, v55, v58
	v_sub_f16_e32 v59, v46, v59
	v_sub_f16_e32 v57, v72, v57
	;; [unrolled: 1-line block ×3, first 2 shown]
	v_mov_b32_e32 v74, 2
	v_fma_f16 v55, v55, 2.0, -v58
	v_fma_f16 v46, v46, 2.0, -v59
	;; [unrolled: 1-line block ×4, first 2 shown]
	ds_write2_b32 v24, v54, v73 offset0:20 offset1:30
	v_lshrrev_b32_e32 v24, 16, v71
	v_lshlrev_b32_sdwa v63, v74, v63 dst_sel:DWORD dst_unused:UNUSED_PAD src0_sel:DWORD src1_sel:BYTE_0
	v_pack_b32_f16 v46, v55, v46
	v_pack_b32_f16 v54, v72, v56
	v_sub_f16_e32 v55, v71, v84
	v_sub_f16_e32 v56, v24, v62
	;; [unrolled: 1-line block ×4, first 2 shown]
	v_add3_u32 v22, v22, v63, v31
	v_fma_f16 v63, v71, 2.0, -v55
	v_fma_f16 v24, v24, 2.0, -v56
	;; [unrolled: 1-line block ×4, first 2 shown]
	v_and_b32_e32 v62, 0xffff, v64
	ds_write2_b32 v22, v54, v46 offset1:10
	v_pack_b32_f16 v46, v57, v60
	v_sub_f16_e32 v57, v63, v61
	v_sub_f16_e32 v48, v24, v48
	v_add_f16_e32 v50, v55, v50
	v_sub_f16_e32 v47, v56, v47
	v_pack_b32_f16 v58, v58, v59
	v_lshrrev_b32_e32 v59, 16, v25
	v_mad_u32_u24 v54, 0xa0, v62, 0
	v_lshlrev_b32_sdwa v60, v74, v65 dst_sel:DWORD dst_unused:UNUSED_PAD src0_sel:DWORD src1_sel:BYTE_0
	v_fma_f16 v61, v63, 2.0, -v57
	v_fma_f16 v24, v24, 2.0, -v48
	;; [unrolled: 1-line block ×4, first 2 shown]
	v_sub_f16_e32 v42, v59, v42
	v_sub_f16_e32 v43, v49, v43
	v_add3_u32 v54, v54, v60, v31
	v_pack_b32_f16 v24, v61, v24
	v_pack_b32_f16 v55, v55, v56
	;; [unrolled: 1-line block ×3, first 2 shown]
	v_sub_f16_e32 v56, v25, v85
	v_sub_f16_e32 v57, v86, v70
	v_pack_b32_f16 v47, v50, v47
	v_fma_f16 v59, v59, 2.0, -v42
	v_fma_f16 v49, v49, 2.0, -v43
	ds_write2_b32 v22, v46, v58 offset0:20 offset1:30
	ds_write2_b32 v54, v24, v55 offset1:10
	v_lshrrev_b32_e32 v46, 16, v52
	v_fma_f16 v25, v25, 2.0, -v56
	v_fma_f16 v50, v86, 2.0, -v57
	ds_write2_b32 v54, v48, v47 offset0:20 offset1:30
	v_sub_f16_e32 v24, v59, v49
	v_sub_f16_e32 v47, v52, v79
	;; [unrolled: 1-line block ×6, first 2 shown]
	v_fma_f16 v50, v52, 2.0, -v47
	v_fma_f16 v51, v89, 2.0, -v44
	v_add_f16_e32 v43, v56, v43
	v_fma_f16 v46, v46, 2.0, -v49
	v_fma_f16 v53, v53, 2.0, -v45
	v_and_b32_e32 v55, 0xffff, v66
	v_sub_f16_e32 v52, v42, v57
	v_sub_f16_e32 v51, v50, v51
	v_fma_f16 v54, v56, 2.0, -v43
	v_sub_f16_e32 v53, v46, v53
	v_add_f16_e32 v45, v47, v45
	v_sub_f16_e32 v44, v49, v44
	v_mad_u32_u24 v55, 0xa0, v55, 0
	v_lshlrev_b32_sdwa v56, v74, v67 dst_sel:DWORD dst_unused:UNUSED_PAD src0_sel:DWORD src1_sel:BYTE_0
	v_and_b32_e32 v57, 0xffff, v68
	v_fma_f16 v25, v25, 2.0, -v22
	v_fma_f16 v48, v59, 2.0, -v24
	;; [unrolled: 1-line block ×7, first 2 shown]
	v_add3_u32 v55, v55, v56, v31
	v_mad_u32_u24 v56, 0xa0, v57, 0
	v_lshlrev_b32_sdwa v57, v74, v69 dst_sel:DWORD dst_unused:UNUSED_PAD src0_sel:DWORD src1_sel:BYTE_0
	v_pack_b32_f16 v25, v25, v48
	v_pack_b32_f16 v42, v54, v42
	;; [unrolled: 1-line block ×4, first 2 shown]
	v_add3_u32 v43, v56, v57, v31
	v_pack_b32_f16 v46, v50, v46
	v_pack_b32_f16 v47, v47, v49
	v_mul_u32_u24_e32 v49, 3, v0
	ds_write2_b32 v55, v25, v42 offset1:10
	ds_write2_b32 v55, v22, v24 offset0:20 offset1:30
	ds_write2_b32 v43, v46, v47 offset1:10
	v_mul_i32_i24_e32 v22, 3, v4
	v_add_nc_u32_e32 v24, -8, v0
	v_pack_b32_f16 v48, v51, v53
	v_pack_b32_f16 v44, v45, v44
	v_lshlrev_b32_e32 v51, 2, v49
	v_lshlrev_b64 v[14:15], 2, v[14:15]
	v_cndmask_b32_e64 v54, v24, v20, s0
	v_lshlrev_b64 v[24:25], 2, v[22:23]
	ds_write2_b32 v43, v48, v44 offset0:20 offset1:30
	s_waitcnt lgkmcnt(0)
	s_barrier
	buffer_gl0_inv
	global_load_dwordx3 v[42:44], v51, s[8:9] offset:120
	v_mul_i32_i24_e32 v22, 3, v54
	v_add_co_u32 v24, s0, s8, v24
	v_add_co_ci_u32_e64 v25, s0, s9, v25, s0
	v_lshlrev_b64 v[45:46], 2, v[22:23]
	v_lshlrev_b32_e32 v60, 2, v54
	global_load_dwordx3 v[22:24], v[24:25], off offset:120
	v_add_co_u32 v45, s0, s8, v45
	v_add_co_ci_u32_e64 v46, s0, s9, v46, s0
	s_clause 0x2
	global_load_dwordx3 v[45:47], v[45:46], off offset:120
	global_load_dwordx3 v[48:50], v51, s[8:9] offset:216
	global_load_dwordx3 v[51:53], v51, s[8:9] offset:408
	ds_read_b32 v64, v34
	ds_read2_b32 v[54:55], v28 offset0:160 offset1:176
	ds_read2_b32 v[56:57], v28 offset0:224 offset1:240
	ds_read_b32 v65, v33
	ds_read2_b32 v[58:59], v29 offset1:16
	v_cmp_lt_u32_e64 s0, 39, v20
	v_lshlrev_b64 v[20:21], 2, v[20:21]
	v_cndmask_b32_e64 v25, 0, 0x280, s0
	v_add_nc_u32_e32 v25, 0, v25
	s_waitcnt lgkmcnt(4)
	v_lshrrev_b32_e32 v73, 16, v64
	v_add3_u32 v25, v25, v60, v31
	ds_read_b32 v31, v36
	ds_read2_b32 v[60:61], v28 offset0:192 offset1:208
	ds_read2_b32 v[62:63], v29 offset0:32 offset1:48
	ds_read_b32 v66, v35
	ds_read_b32 v67, v37
	;; [unrolled: 1-line block ×7, first 2 shown]
	s_waitcnt lgkmcnt(13)
	v_lshrrev_b32_e32 v74, 16, v54
	s_waitcnt lgkmcnt(12)
	v_lshrrev_b32_e32 v75, 16, v57
	v_lshrrev_b32_e32 v76, 16, v55
	s_waitcnt lgkmcnt(11)
	v_lshrrev_b32_e32 v77, 16, v65
	s_waitcnt lgkmcnt(10)
	v_lshrrev_b32_e32 v78, 16, v58
	v_lshrrev_b32_e32 v79, 16, v59
	;; [unrolled: 1-line block ×3, first 2 shown]
	s_waitcnt vmcnt(0) lgkmcnt(0)
	s_barrier
	buffer_gl0_inv
	v_lshrrev_b32_e32 v80, 16, v31
	v_lshrrev_b32_e32 v81, 16, v60
	;; [unrolled: 1-line block ×9, first 2 shown]
	v_mul_f16_sdwa v89, v42, v73 dst_sel:DWORD dst_unused:UNUSED_PAD src0_sel:WORD_1 src1_sel:DWORD
	v_mul_f16_sdwa v91, v42, v64 dst_sel:DWORD dst_unused:UNUSED_PAD src0_sel:WORD_1 src1_sel:DWORD
	;; [unrolled: 1-line block ×4, first 2 shown]
	v_fmac_f16_e32 v89, v42, v64
	v_mul_f16_sdwa v64, v44, v57 dst_sel:DWORD dst_unused:UNUSED_PAD src0_sel:WORD_1 src1_sel:DWORD
	v_fma_f16 v42, v42, v73, -v91
	v_mul_f16_sdwa v73, v44, v75 dst_sel:DWORD dst_unused:UNUSED_PAD src0_sel:WORD_1 src1_sel:DWORD
	v_fma_f16 v74, v43, v74, -v92
	v_fmac_f16_e32 v93, v43, v54
	v_fma_f16 v64, v44, v75, -v64
	v_mul_f16_sdwa v75, v76, v23 dst_sel:DWORD dst_unused:UNUSED_PAD src0_sel:DWORD src1_sel:WORD_1
	v_fmac_f16_e32 v73, v44, v57
	v_mul_f16_sdwa v43, v22, v77 dst_sel:DWORD dst_unused:UNUSED_PAD src0_sel:WORD_1 src1_sel:DWORD
	v_mul_f16_sdwa v44, v22, v65 dst_sel:DWORD dst_unused:UNUSED_PAD src0_sel:WORD_1 src1_sel:DWORD
	v_mul_f16_sdwa v54, v55, v23 dst_sel:DWORD dst_unused:UNUSED_PAD src0_sel:DWORD src1_sel:WORD_1
	v_fmac_f16_e32 v75, v55, v23
	v_mul_f16_sdwa v55, v58, v24 dst_sel:DWORD dst_unused:UNUSED_PAD src0_sel:DWORD src1_sel:WORD_1
	v_mul_f16_sdwa v57, v78, v24 dst_sel:DWORD dst_unused:UNUSED_PAD src0_sel:DWORD src1_sel:WORD_1
	v_fmac_f16_e32 v43, v22, v65
	v_mul_f16_sdwa v65, v79, v47 dst_sel:DWORD dst_unused:UNUSED_PAD src0_sel:DWORD src1_sel:WORD_1
	v_fma_f16 v22, v22, v77, -v44
	v_mul_f16_sdwa v44, v59, v47 dst_sel:DWORD dst_unused:UNUSED_PAD src0_sel:DWORD src1_sel:WORD_1
	v_fma_f16 v23, v76, v23, -v54
	v_mul_f16_sdwa v54, v80, v45 dst_sel:DWORD dst_unused:UNUSED_PAD src0_sel:DWORD src1_sel:WORD_1
	v_fma_f16 v55, v78, v24, -v55
	v_mul_f16_sdwa v76, v31, v45 dst_sel:DWORD dst_unused:UNUSED_PAD src0_sel:DWORD src1_sel:WORD_1
	v_fmac_f16_e32 v57, v58, v24
	v_mul_f16_sdwa v24, v60, v46 dst_sel:DWORD dst_unused:UNUSED_PAD src0_sel:DWORD src1_sel:WORD_1
	v_mul_f16_sdwa v58, v81, v46 dst_sel:DWORD dst_unused:UNUSED_PAD src0_sel:DWORD src1_sel:WORD_1
	;; [unrolled: 1-line block ×3, first 2 shown]
	v_fmac_f16_e32 v65, v59, v47
	v_mul_f16_sdwa v59, v61, v49 dst_sel:DWORD dst_unused:UNUSED_PAD src0_sel:DWORD src1_sel:WORD_1
	v_mul_f16_sdwa v78, v83, v48 dst_sel:DWORD dst_unused:UNUSED_PAD src0_sel:DWORD src1_sel:WORD_1
	v_fmac_f16_e32 v54, v31, v45
	v_mul_f16_sdwa v31, v66, v48 dst_sel:DWORD dst_unused:UNUSED_PAD src0_sel:DWORD src1_sel:WORD_1
	v_fma_f16 v45, v80, v45, -v76
	v_mul_f16_sdwa v76, v62, v50 dst_sel:DWORD dst_unused:UNUSED_PAD src0_sel:DWORD src1_sel:WORD_1
	v_fma_f16 v44, v79, v47, -v44
	;; [unrolled: 2-line block ×3, first 2 shown]
	v_mul_f16_sdwa v79, v85, v52 dst_sel:DWORD dst_unused:UNUSED_PAD src0_sel:DWORD src1_sel:WORD_1
	v_fmac_f16_e32 v58, v60, v46
	v_mul_f16_sdwa v46, v56, v52 dst_sel:DWORD dst_unused:UNUSED_PAD src0_sel:DWORD src1_sel:WORD_1
	v_mul_f16_sdwa v60, v86, v53 dst_sel:DWORD dst_unused:UNUSED_PAD src0_sel:DWORD src1_sel:WORD_1
	;; [unrolled: 1-line block ×3, first 2 shown]
	v_fmac_f16_e32 v77, v61, v49
	v_mul_f16_sdwa v61, v87, v51 dst_sel:DWORD dst_unused:UNUSED_PAD src0_sel:DWORD src1_sel:WORD_1
	v_mul_f16_sdwa v81, v67, v51 dst_sel:DWORD dst_unused:UNUSED_PAD src0_sel:DWORD src1_sel:WORD_1
	v_fmac_f16_e32 v78, v66, v48
	v_fma_f16 v31, v83, v48, -v31
	v_fma_f16 v48, v82, v49, -v59
	;; [unrolled: 1-line block ×3, first 2 shown]
	v_fmac_f16_e32 v47, v62, v50
	v_fmac_f16_e32 v79, v56, v52
	;; [unrolled: 1-line block ×4, first 2 shown]
	v_fma_f16 v50, v87, v51, -v81
	v_fma_f16 v46, v85, v52, -v46
	;; [unrolled: 1-line block ×3, first 2 shown]
	v_sub_f16_e32 v52, v89, v73
	v_sub_f16_e32 v53, v42, v64
	;; [unrolled: 1-line block ×8, first 2 shown]
	v_fma_f16 v63, v89, 2.0, -v52
	v_fma_f16 v42, v42, 2.0, -v53
	v_add_f16_e32 v53, v56, v53
	v_sub_f16_e32 v52, v59, v52
	v_fma_f16 v64, v71, 2.0, -v56
	v_fma_f16 v66, v88, 2.0, -v59
	;; [unrolled: 1-line block ×4, first 2 shown]
	v_add_f16_e32 v55, v62, v55
	v_sub_f16_e32 v57, v23, v57
	v_lshrrev_b32_e32 v91, 16, v69
	v_fma_f16 v67, v70, 2.0, -v62
	v_fma_f16 v70, v90, 2.0, -v23
	;; [unrolled: 1-line block ×3, first 2 shown]
	v_pack_b32_f16 v53, v53, v52
	v_fma_f16 v52, v59, 2.0, -v52
	v_sub_f16_e32 v59, v64, v63
	v_sub_f16_e32 v42, v66, v42
	v_fma_f16 v62, v62, 2.0, -v55
	v_fma_f16 v23, v23, 2.0, -v57
	v_sub_f16_e32 v58, v69, v58
	v_sub_f16_e32 v43, v67, v43
	;; [unrolled: 1-line block ×3, first 2 shown]
	v_fma_f16 v63, v64, 2.0, -v59
	v_fma_f16 v64, v66, 2.0, -v42
	v_pack_b32_f16 v23, v62, v23
	v_sub_f16_e32 v24, v91, v24
	v_sub_f16_e32 v62, v54, v65
	;; [unrolled: 1-line block ×3, first 2 shown]
	v_pack_b32_f16 v42, v59, v42
	v_pack_b32_f16 v52, v56, v52
	v_fma_f16 v56, v67, 2.0, -v43
	v_pack_b32_f16 v59, v63, v64
	v_fma_f16 v63, v70, 2.0, -v22
	v_fma_f16 v64, v69, 2.0, -v58
	;; [unrolled: 1-line block ×5, first 2 shown]
	v_pack_b32_f16 v56, v56, v63
	ds_write2_b32 v28, v42, v53 offset0:80 offset1:120
	ds_write2_b32 v28, v59, v52 offset1:40
	v_pack_b32_f16 v22, v43, v22
	v_sub_f16_e32 v42, v64, v54
	v_sub_f16_e32 v45, v65, v45
	ds_write2_b32 v41, v56, v23 offset1:40
	v_pack_b32_f16 v23, v55, v57
	v_add_f16_e32 v44, v58, v44
	v_fma_f16 v43, v64, 2.0, -v42
	v_fma_f16 v52, v65, 2.0, -v45
	v_sub_f16_e32 v55, v24, v62
	v_lshrrev_b32_e32 v53, 16, v68
	v_fma_f16 v58, v58, 2.0, -v44
	v_sub_f16_e32 v54, v68, v77
	v_pack_b32_f16 v43, v43, v52
	v_fma_f16 v24, v24, 2.0, -v55
	v_lshrrev_b32_e32 v52, 16, v72
	v_sub_f16_e32 v47, v78, v47
	v_sub_f16_e32 v48, v53, v48
	;; [unrolled: 1-line block ×3, first 2 shown]
	v_pack_b32_f16 v24, v58, v24
	v_sub_f16_e32 v58, v72, v79
	v_sub_f16_e32 v46, v52, v46
	;; [unrolled: 1-line block ×4, first 2 shown]
	v_fma_f16 v56, v68, 2.0, -v54
	v_fma_f16 v57, v78, 2.0, -v47
	;; [unrolled: 1-line block ×8, first 2 shown]
	v_sub_f16_e32 v57, v56, v57
	v_sub_f16_e32 v31, v53, v31
	v_add_f16_e32 v49, v54, v49
	v_sub_f16_e32 v61, v60, v61
	v_sub_f16_e32 v50, v52, v50
	;; [unrolled: 1-line block ×3, first 2 shown]
	v_add_f16_e32 v51, v58, v51
	v_sub_f16_e32 v59, v46, v59
	v_fma_f16 v56, v56, 2.0, -v57
	v_fma_f16 v53, v53, 2.0, -v31
	;; [unrolled: 1-line block ×8, first 2 shown]
	ds_write2_b32 v41, v22, v23 offset0:80 offset1:120
	ds_write2_b32 v25, v43, v24 offset1:40
	v_pack_b32_f16 v22, v42, v45
	v_pack_b32_f16 v23, v44, v55
	;; [unrolled: 1-line block ×10, first 2 shown]
	ds_write2_b32 v25, v22, v23 offset0:80 offset1:120
	ds_write2_b32 v28, v24, v44 offset0:168 offset1:184
	;; [unrolled: 1-line block ×5, first 2 shown]
	v_lshlrev_b64 v[22:23], 2, v[0:1]
	v_lshlrev_b64 v[24:25], 2, v[4:5]
	;; [unrolled: 1-line block ×4, first 2 shown]
	s_waitcnt lgkmcnt(0)
	s_barrier
	v_add_co_u32 v22, s0, s8, v22
	v_add_co_ci_u32_e64 v23, s0, s9, v23, s0
	v_add_co_u32 v18, s0, s8, v24
	v_add_co_ci_u32_e64 v19, s0, s9, v25, s0
	v_lshlrev_b64 v[24:25], 2, v[16:17]
	v_add_co_u32 v16, s0, s8, v31
	v_add_co_ci_u32_e64 v17, s0, s9, v32, s0
	v_add_co_u32 v14, s0, s8, v14
	v_add_co_ci_u32_e64 v15, s0, s9, v15, s0
	v_lshlrev_b64 v[31:32], 2, v[12:13]
	v_add_co_u32 v12, s0, s8, v20
	v_add_co_ci_u32_e64 v13, s0, s9, v21, s0
	v_lshlrev_b64 v[20:21], 2, v[10:11]
	v_add_co_u32 v10, s0, s8, v5
	v_add_co_ci_u32_e64 v11, s0, s9, v6, s0
	buffer_gl0_inv
	v_add_co_u32 v5, s0, s8, v20
	v_add_co_ci_u32_e64 v6, s0, s9, v21, s0
	v_add_co_u32 v20, s0, s8, v24
	v_add_co_ci_u32_e64 v21, s0, s9, v25, s0
	v_lshlrev_b64 v[24:25], 2, v[8:9]
	v_add_co_u32 v7, s0, s8, v31
	v_add_co_ci_u32_e64 v8, s0, s9, v32, s0
	s_clause 0x4
	global_load_dword v1, v[16:17], off offset:600
	global_load_dword v50, v[14:15], off offset:600
	;; [unrolled: 1-line block ×5, first 2 shown]
	v_add_co_u32 v24, s0, s8, v24
	v_add_co_ci_u32_e64 v25, s0, s9, v25, s0
	s_clause 0x4
	global_load_dword v9, v[5:6], off offset:600
	global_load_dword v54, v[10:11], off offset:600
	;; [unrolled: 1-line block ×5, first 2 shown]
	ds_read2_b32 v[31:32], v28 offset0:160 offset1:176
	ds_read2_b32 v[42:43], v29 offset0:32 offset1:48
	ds_read2_b32 v[44:45], v29 offset1:16
	ds_read2_b32 v[46:47], v28 offset0:224 offset1:240
	ds_read2_b32 v[48:49], v28 offset0:192 offset1:208
	ds_read_b32 v29, v27
	ds_read_b32 v58, v37
	ds_read_b32 v59, v33
	ds_read_b32 v60, v40
	ds_read_b32 v61, v35
	ds_read_b32 v62, v38
	ds_read_b32 v63, v36
	ds_read_b32 v64, v39
	ds_read_b32 v65, v41
	ds_read_b32 v66, v34
	s_waitcnt vmcnt(0) lgkmcnt(0)
	s_barrier
	buffer_gl0_inv
	v_cmp_ne_u32_e64 s0, 0, v0
	v_pk_mul_f16 v70, v42, v1 op_sel:[0,1]
	v_pk_mul_f16 v69, v43, v50 op_sel:[0,1]
	;; [unrolled: 1-line block ×10, first 2 shown]
	v_pk_fma_f16 v77, v52, v32, v67 op_sel:[0,0,1] op_sel_hi:[1,1,0]
	v_pk_fma_f16 v32, v52, v32, v67 op_sel:[0,0,1] op_sel_hi:[1,0,0] neg_lo:[1,0,0] neg_hi:[1,0,0]
	v_pk_fma_f16 v52, v53, v31, v68 op_sel:[0,0,1] op_sel_hi:[1,1,0]
	v_pk_fma_f16 v31, v53, v31, v68 op_sel:[0,0,1] op_sel_hi:[1,0,0] neg_lo:[1,0,0] neg_hi:[1,0,0]
	;; [unrolled: 2-line block ×10, first 2 shown]
	v_bfi_b32 v31, 0xffff, v52, v31
	v_bfi_b32 v32, 0xffff, v77, v32
	;; [unrolled: 1-line block ×10, first 2 shown]
	v_pk_add_f16 v31, v29, v31 neg_lo:[0,1] neg_hi:[0,1]
	v_pk_add_f16 v32, v65, v32 neg_lo:[0,1] neg_hi:[0,1]
	;; [unrolled: 1-line block ×10, first 2 shown]
	v_pk_fma_f16 v29, v29, 2.0, v31 op_sel_hi:[1,0,1] neg_lo:[0,0,1] neg_hi:[0,0,1]
	v_pk_fma_f16 v48, v65, 2.0, v32 op_sel_hi:[1,0,1] neg_lo:[0,0,1] neg_hi:[0,0,1]
	;; [unrolled: 1-line block ×10, first 2 shown]
	ds_write2_b32 v28, v29, v31 offset1:160
	ds_write2_b32 v41, v48, v32 offset1:160
	;; [unrolled: 1-line block ×10, first 2 shown]
	s_waitcnt lgkmcnt(0)
	s_barrier
	buffer_gl0_inv
	ds_read_b32 v31, v27
	v_sub_nc_u32_e32 v1, v30, v26
                                        ; implicit-def: $vgpr28
                                        ; implicit-def: $vgpr9
                                        ; implicit-def: $vgpr29
	s_and_saveexec_b32 s1, s0
	s_xor_b32 s0, exec_lo, s1
	s_cbranch_execz .LBB0_15
; %bb.14:
	global_load_dword v9, v[22:23], off offset:1240
	ds_read_b32 v22, v1 offset:1280
	s_waitcnt lgkmcnt(0)
	v_pk_add_f16 v23, v31, v22 neg_lo:[0,1] neg_hi:[0,1]
	v_pk_add_f16 v22, v22, v31
	v_bfi_b32 v28, 0xffff, v23, v22
	v_bfi_b32 v22, 0xffff, v22, v23
	v_pk_mul_f16 v28, v28, 0.5 op_sel_hi:[1,0]
	v_pk_mul_f16 v29, v22, 0.5 op_sel_hi:[1,0]
	s_waitcnt vmcnt(0)
	v_pk_mul_f16 v23, v9, v28 op_sel:[1,0]
	v_pk_mul_f16 v31, v9, v28 op_sel_hi:[0,1]
	v_pk_fma_f16 v9, v22, 0.5, v23 op_sel_hi:[1,0,1]
	v_sub_f16_e32 v22, v29, v23
	v_sub_f16_sdwa v23, v23, v29 dst_sel:DWORD dst_unused:UNUSED_PAD src0_sel:WORD_1 src1_sel:WORD_1
	v_pk_add_f16 v28, v9, v31 op_sel:[0,1] op_sel_hi:[1,0]
	v_pk_add_f16 v32, v9, v31 op_sel:[0,1] op_sel_hi:[1,0] neg_lo:[0,1] neg_hi:[0,1]
	v_sub_f16_sdwa v9, v22, v31 dst_sel:DWORD dst_unused:UNUSED_PAD src0_sel:DWORD src1_sel:WORD_1
	v_sub_f16_e32 v29, v23, v31
                                        ; implicit-def: $vgpr31
	v_bfi_b32 v28, 0xffff, v28, v32
.LBB0_15:
	s_andn2_saveexec_b32 s0, s0
	s_cbranch_execz .LBB0_17
; %bb.16:
	ds_read_u16 v22, v30 offset:642
	s_waitcnt lgkmcnt(1)
	v_alignbit_b32 v9, s0, v31, 16
	v_mov_b32_e32 v29, 0
	v_pk_add_f16 v23, v9, v31
	v_sub_f16_sdwa v9, v31, v31 dst_sel:DWORD dst_unused:UNUSED_PAD src0_sel:DWORD src1_sel:WORD_1
	v_pack_b32_f16 v28, v23, 0
	s_waitcnt lgkmcnt(0)
	v_xor_b32_e32 v22, 0x8000, v22
	ds_write_b16 v30, v22 offset:642
.LBB0_17:
	s_or_b32 exec_lo, exec_lo, s0
	s_clause 0x4
	global_load_dword v18, v[18:19], off offset:1240
	global_load_dword v12, v[12:13], off offset:1240
	;; [unrolled: 1-line block ×5, first 2 shown]
	v_lshl_add_u32 v4, v4, 2, v30
	ds_write_b16 v1, v29 offset:1282
	ds_write_b32 v27, v28
	ds_write_b16 v1, v9 offset:1280
	ds_read_b32 v8, v4
	ds_read_b32 v9, v1 offset:1216
	s_clause 0x2
	global_load_dword v10, v[10:11], off offset:1240
	global_load_dword v5, v[5:6], off offset:1240
	;; [unrolled: 1-line block ×3, first 2 shown]
	s_waitcnt lgkmcnt(0)
	v_pk_add_f16 v11, v8, v9 neg_lo:[0,1] neg_hi:[0,1]
	v_pk_add_f16 v8, v8, v9
	v_bfi_b32 v9, 0xffff, v11, v8
	v_bfi_b32 v8, 0xffff, v8, v11
	v_pk_mul_f16 v9, v9, 0.5 op_sel_hi:[1,0]
	v_pk_mul_f16 v8, v8, 0.5 op_sel_hi:[1,0]
	s_waitcnt vmcnt(7)
	v_pk_fma_f16 v11, v18, v9, v8 op_sel:[1,0,0]
	v_pk_mul_f16 v16, v18, v9 op_sel_hi:[0,1]
	v_pk_fma_f16 v17, v18, v9, v8 op_sel:[1,0,0] neg_lo:[1,0,0] neg_hi:[1,0,0]
	v_pk_fma_f16 v8, v18, v9, v8 op_sel:[1,0,0] neg_lo:[0,0,1] neg_hi:[0,0,1]
	v_pk_add_f16 v9, v11, v16 op_sel:[0,1] op_sel_hi:[1,0]
	v_pk_add_f16 v11, v11, v16 op_sel:[0,1] op_sel_hi:[1,0] neg_lo:[0,1] neg_hi:[0,1]
	v_pk_add_f16 v17, v17, v16 op_sel:[0,1] op_sel_hi:[1,0] neg_lo:[0,1] neg_hi:[0,1]
	;; [unrolled: 1-line block ×3, first 2 shown]
	v_bfi_b32 v9, 0xffff, v9, v11
	v_bfi_b32 v8, 0xffff, v17, v8
	ds_write_b32 v4, v9
	ds_write_b32 v1, v8 offset:1216
	ds_read_b32 v4, v39
	ds_read_b32 v8, v1 offset:1152
	s_waitcnt lgkmcnt(0)
	v_pk_add_f16 v9, v4, v8 neg_lo:[0,1] neg_hi:[0,1]
	v_pk_add_f16 v4, v4, v8
	v_bfi_b32 v8, 0xffff, v9, v4
	v_bfi_b32 v4, 0xffff, v4, v9
	v_pk_mul_f16 v8, v8, 0.5 op_sel_hi:[1,0]
	v_pk_mul_f16 v4, v4, 0.5 op_sel_hi:[1,0]
	s_waitcnt vmcnt(6)
	v_pk_mul_f16 v11, v12, v8 op_sel_hi:[0,1]
	v_pk_fma_f16 v9, v12, v8, v4 op_sel:[1,0,0]
	v_pk_fma_f16 v16, v12, v8, v4 op_sel:[1,0,0] neg_lo:[1,0,0] neg_hi:[1,0,0]
	v_pk_fma_f16 v4, v12, v8, v4 op_sel:[1,0,0] neg_lo:[0,0,1] neg_hi:[0,0,1]
	v_pk_add_f16 v8, v9, v11 op_sel:[0,1] op_sel_hi:[1,0]
	v_pk_add_f16 v9, v9, v11 op_sel:[0,1] op_sel_hi:[1,0] neg_lo:[0,1] neg_hi:[0,1]
	v_pk_add_f16 v12, v16, v11 op_sel:[0,1] op_sel_hi:[1,0] neg_lo:[0,1] neg_hi:[0,1]
	;; [unrolled: 1-line block ×3, first 2 shown]
	v_bfi_b32 v8, 0xffff, v8, v9
	v_bfi_b32 v4, 0xffff, v12, v4
	ds_write_b32 v39, v8
	ds_write_b32 v1, v4 offset:1152
	ds_read_b32 v4, v38
	ds_read_b32 v8, v1 offset:1088
	s_waitcnt lgkmcnt(0)
	v_pk_add_f16 v9, v4, v8 neg_lo:[0,1] neg_hi:[0,1]
	v_pk_add_f16 v4, v4, v8
	v_bfi_b32 v8, 0xffff, v9, v4
	v_bfi_b32 v4, 0xffff, v4, v9
	v_pk_mul_f16 v8, v8, 0.5 op_sel_hi:[1,0]
	v_pk_mul_f16 v11, v4, 0.5 op_sel_hi:[1,0]
	s_waitcnt vmcnt(5)
	v_pk_mul_f16 v9, v13, v8 op_sel:[1,0]
	v_pk_mul_f16 v8, v13, v8 op_sel_hi:[0,1]
	v_pk_fma_f16 v4, v4, 0.5, v9 op_sel_hi:[1,0,1]
	v_sub_f16_sdwa v12, v9, v11 dst_sel:DWORD dst_unused:UNUSED_PAD src0_sel:WORD_1 src1_sel:WORD_1
	v_sub_f16_e32 v9, v11, v9
	v_pk_add_f16 v13, v4, v8 op_sel:[0,1] op_sel_hi:[1,0]
	v_pk_add_f16 v4, v4, v8 op_sel:[0,1] op_sel_hi:[1,0] neg_lo:[0,1] neg_hi:[0,1]
	v_sub_f16_e32 v11, v12, v8
	v_sub_f16_sdwa v8, v9, v8 dst_sel:DWORD dst_unused:UNUSED_PAD src0_sel:DWORD src1_sel:WORD_1
	v_bfi_b32 v4, 0xffff, v13, v4
	ds_write_b16 v1, v11 offset:1090
	ds_write_b32 v38, v4
	ds_write_b16 v1, v8 offset:1088
	ds_read_b32 v4, v40
	ds_read_b32 v8, v1 offset:1024
	global_load_dword v9, v[14:15], off offset:1240
	s_waitcnt lgkmcnt(0)
	v_pk_add_f16 v11, v4, v8 neg_lo:[0,1] neg_hi:[0,1]
	v_pk_add_f16 v4, v4, v8
	v_bfi_b32 v8, 0xffff, v11, v4
	v_bfi_b32 v4, 0xffff, v4, v11
	v_pk_mul_f16 v8, v8, 0.5 op_sel_hi:[1,0]
	v_pk_mul_f16 v4, v4, 0.5 op_sel_hi:[1,0]
	s_waitcnt vmcnt(5)
	v_pk_mul_f16 v12, v19, v8 op_sel_hi:[0,1]
	v_pk_fma_f16 v11, v19, v8, v4 op_sel:[1,0,0]
	v_pk_fma_f16 v13, v19, v8, v4 op_sel:[1,0,0] neg_lo:[1,0,0] neg_hi:[1,0,0]
	v_pk_fma_f16 v4, v19, v8, v4 op_sel:[1,0,0] neg_lo:[0,0,1] neg_hi:[0,0,1]
	v_pk_add_f16 v8, v11, v12 op_sel:[0,1] op_sel_hi:[1,0]
	v_pk_add_f16 v11, v11, v12 op_sel:[0,1] op_sel_hi:[1,0] neg_lo:[0,1] neg_hi:[0,1]
	v_pk_add_f16 v13, v13, v12 op_sel:[0,1] op_sel_hi:[1,0] neg_lo:[0,1] neg_hi:[0,1]
	v_pk_add_f16 v4, v4, v12 op_sel:[0,1] op_sel_hi:[1,0] neg_lo:[0,1] neg_hi:[0,1]
	v_bfi_b32 v8, 0xffff, v8, v11
	v_bfi_b32 v4, 0xffff, v13, v4
	ds_write_b32 v40, v8
	ds_write_b32 v1, v4 offset:1024
	ds_read_b32 v4, v34
	ds_read_b32 v8, v1 offset:960
	s_waitcnt lgkmcnt(0)
	v_pk_add_f16 v11, v4, v8 neg_lo:[0,1] neg_hi:[0,1]
	v_pk_add_f16 v4, v4, v8
	v_bfi_b32 v8, 0xffff, v11, v4
	v_bfi_b32 v4, 0xffff, v4, v11
	v_pk_mul_f16 v8, v8, 0.5 op_sel_hi:[1,0]
	v_pk_mul_f16 v4, v4, 0.5 op_sel_hi:[1,0]
	s_waitcnt vmcnt(4)
	v_pk_mul_f16 v12, v7, v8 op_sel_hi:[0,1]
	v_pk_fma_f16 v11, v7, v8, v4 op_sel:[1,0,0]
	v_pk_fma_f16 v13, v7, v8, v4 op_sel:[1,0,0] neg_lo:[1,0,0] neg_hi:[1,0,0]
	v_pk_fma_f16 v4, v7, v8, v4 op_sel:[1,0,0] neg_lo:[0,0,1] neg_hi:[0,0,1]
	v_pk_add_f16 v7, v11, v12 op_sel:[0,1] op_sel_hi:[1,0]
	v_pk_add_f16 v8, v11, v12 op_sel:[0,1] op_sel_hi:[1,0] neg_lo:[0,1] neg_hi:[0,1]
	v_pk_add_f16 v11, v13, v12 op_sel:[0,1] op_sel_hi:[1,0] neg_lo:[0,1] neg_hi:[0,1]
	v_pk_add_f16 v4, v4, v12 op_sel:[0,1] op_sel_hi:[1,0] neg_lo:[0,1] neg_hi:[0,1]
	v_bfi_b32 v7, 0xffff, v7, v8
	v_bfi_b32 v4, 0xffff, v11, v4
	ds_write_b32 v34, v7
	ds_write_b32 v1, v4 offset:960
	ds_read_b32 v4, v33
	ds_read_b32 v7, v1 offset:896
	;; [unrolled: 22-line block ×3, first 2 shown]
	s_waitcnt lgkmcnt(0)
	v_pk_add_f16 v8, v4, v7 neg_lo:[0,1] neg_hi:[0,1]
	v_pk_add_f16 v4, v4, v7
	v_bfi_b32 v7, 0xffff, v8, v4
	v_bfi_b32 v4, 0xffff, v4, v8
	v_pk_mul_f16 v7, v7, 0.5 op_sel_hi:[1,0]
	v_pk_mul_f16 v10, v4, 0.5 op_sel_hi:[1,0]
	s_waitcnt vmcnt(2)
	v_pk_mul_f16 v8, v5, v7 op_sel:[1,0]
	v_pk_mul_f16 v5, v5, v7 op_sel_hi:[0,1]
	v_pk_fma_f16 v4, v4, 0.5, v8 op_sel_hi:[1,0,1]
	v_sub_f16_sdwa v7, v8, v10 dst_sel:DWORD dst_unused:UNUSED_PAD src0_sel:WORD_1 src1_sel:WORD_1
	v_sub_f16_e32 v8, v10, v8
	v_pk_add_f16 v11, v4, v5 op_sel:[0,1] op_sel_hi:[1,0]
	v_pk_add_f16 v4, v4, v5 op_sel:[0,1] op_sel_hi:[1,0] neg_lo:[0,1] neg_hi:[0,1]
	v_sub_f16_e32 v7, v7, v5
	v_sub_f16_sdwa v5, v8, v5 dst_sel:DWORD dst_unused:UNUSED_PAD src0_sel:DWORD src1_sel:WORD_1
	v_bfi_b32 v4, 0xffff, v11, v4
	ds_write_b16 v1, v7 offset:834
	ds_write_b32 v36, v4
	ds_write_b16 v1, v5 offset:832
	ds_read_b32 v4, v35
	ds_read_b32 v5, v1 offset:768
	s_waitcnt lgkmcnt(0)
	v_pk_add_f16 v7, v4, v5 neg_lo:[0,1] neg_hi:[0,1]
	v_pk_add_f16 v4, v4, v5
	v_bfi_b32 v5, 0xffff, v7, v4
	v_bfi_b32 v4, 0xffff, v4, v7
	v_pk_mul_f16 v5, v5, 0.5 op_sel_hi:[1,0]
	v_pk_mul_f16 v4, v4, 0.5 op_sel_hi:[1,0]
	s_waitcnt vmcnt(1)
	v_pk_mul_f16 v8, v6, v5 op_sel_hi:[0,1]
	v_pk_fma_f16 v7, v6, v5, v4 op_sel:[1,0,0]
	v_pk_fma_f16 v10, v6, v5, v4 op_sel:[1,0,0] neg_lo:[1,0,0] neg_hi:[1,0,0]
	v_pk_fma_f16 v4, v6, v5, v4 op_sel:[1,0,0] neg_lo:[0,0,1] neg_hi:[0,0,1]
	v_pk_add_f16 v5, v7, v8 op_sel:[0,1] op_sel_hi:[1,0]
	v_pk_add_f16 v6, v7, v8 op_sel:[0,1] op_sel_hi:[1,0] neg_lo:[0,1] neg_hi:[0,1]
	v_pk_add_f16 v7, v10, v8 op_sel:[0,1] op_sel_hi:[1,0] neg_lo:[0,1] neg_hi:[0,1]
	;; [unrolled: 1-line block ×3, first 2 shown]
	v_bfi_b32 v5, 0xffff, v5, v6
	v_bfi_b32 v4, 0xffff, v7, v4
	ds_write_b32 v35, v5
	ds_write_b32 v1, v4 offset:768
	ds_read_b32 v4, v37
	ds_read_b32 v5, v1 offset:704
	s_waitcnt lgkmcnt(0)
	v_pk_add_f16 v6, v4, v5 neg_lo:[0,1] neg_hi:[0,1]
	v_pk_add_f16 v4, v4, v5
	v_bfi_b32 v5, 0xffff, v6, v4
	v_bfi_b32 v4, 0xffff, v4, v6
	v_pk_mul_f16 v5, v5, 0.5 op_sel_hi:[1,0]
	v_pk_mul_f16 v4, v4, 0.5 op_sel_hi:[1,0]
	s_waitcnt vmcnt(0)
	v_pk_fma_f16 v6, v9, v5, v4 op_sel:[1,0,0]
	v_pk_mul_f16 v7, v9, v5 op_sel_hi:[0,1]
	v_pk_fma_f16 v8, v9, v5, v4 op_sel:[1,0,0] neg_lo:[1,0,0] neg_hi:[1,0,0]
	v_pk_fma_f16 v4, v9, v5, v4 op_sel:[1,0,0] neg_lo:[0,0,1] neg_hi:[0,0,1]
	v_pk_add_f16 v5, v6, v7 op_sel:[0,1] op_sel_hi:[1,0]
	v_pk_add_f16 v6, v6, v7 op_sel:[0,1] op_sel_hi:[1,0] neg_lo:[0,1] neg_hi:[0,1]
	v_pk_add_f16 v8, v8, v7 op_sel:[0,1] op_sel_hi:[1,0] neg_lo:[0,1] neg_hi:[0,1]
	;; [unrolled: 1-line block ×3, first 2 shown]
	v_bfi_b32 v5, 0xffff, v5, v6
	v_bfi_b32 v4, 0xffff, v8, v4
	ds_write_b32 v37, v5
	ds_write_b32 v1, v4 offset:704
	s_waitcnt lgkmcnt(0)
	s_barrier
	buffer_gl0_inv
	s_and_saveexec_b32 s0, vcc_lo
	s_cbranch_execz .LBB0_20
; %bb.18:
	v_add_co_u32 v1, vcc_lo, s2, v2
	v_add_co_ci_u32_e32 v2, vcc_lo, s3, v3, vcc_lo
	v_add_nc_u32_e32 v3, 0x400, v27
	ds_read2_b32 v[4:5], v27 offset1:16
	ds_read2_b32 v[6:7], v27 offset0:32 offset1:48
	ds_read2_b32 v[8:9], v27 offset0:64 offset1:80
	;; [unrolled: 1-line block ×7, first 2 shown]
	ds_read2_b32 v[22:23], v3 offset1:16
	ds_read2_b32 v[24:25], v3 offset0:32 offset1:48
	v_add_co_u32 v20, vcc_lo, v1, v26
	v_add_co_ci_u32_e32 v21, vcc_lo, 0, v2, vcc_lo
	v_cmp_eq_u32_e32 vcc_lo, 15, v0
	s_waitcnt lgkmcnt(9)
	global_store_dword v[20:21], v4, off
	global_store_dword v[20:21], v5, off offset:64
	s_waitcnt lgkmcnt(8)
	global_store_dword v[20:21], v6, off offset:128
	global_store_dword v[20:21], v7, off offset:192
	s_waitcnt lgkmcnt(7)
	global_store_dword v[20:21], v8, off offset:256
	;; [unrolled: 3-line block ×9, first 2 shown]
	global_store_dword v[20:21], v25, off offset:1216
	s_and_b32 exec_lo, exec_lo, vcc_lo
	s_cbranch_execz .LBB0_20
; %bb.19:
	ds_read_b32 v0, v27 offset:1220
	s_waitcnt lgkmcnt(0)
	global_store_dword v[1:2], v0, off offset:1280
.LBB0_20:
	s_endpgm
	.section	.rodata,"a",@progbits
	.p2align	6, 0x0
	.amdhsa_kernel fft_rtc_back_len320_factors_10_4_4_2_wgs_64_tpt_16_halfLds_half_ip_CI_unitstride_sbrr_R2C_dirReg
		.amdhsa_group_segment_fixed_size 0
		.amdhsa_private_segment_fixed_size 0
		.amdhsa_kernarg_size 88
		.amdhsa_user_sgpr_count 6
		.amdhsa_user_sgpr_private_segment_buffer 1
		.amdhsa_user_sgpr_dispatch_ptr 0
		.amdhsa_user_sgpr_queue_ptr 0
		.amdhsa_user_sgpr_kernarg_segment_ptr 1
		.amdhsa_user_sgpr_dispatch_id 0
		.amdhsa_user_sgpr_flat_scratch_init 0
		.amdhsa_user_sgpr_private_segment_size 0
		.amdhsa_wavefront_size32 1
		.amdhsa_uses_dynamic_stack 0
		.amdhsa_system_sgpr_private_segment_wavefront_offset 0
		.amdhsa_system_sgpr_workgroup_id_x 1
		.amdhsa_system_sgpr_workgroup_id_y 0
		.amdhsa_system_sgpr_workgroup_id_z 0
		.amdhsa_system_sgpr_workgroup_info 0
		.amdhsa_system_vgpr_workitem_id 0
		.amdhsa_next_free_vgpr 94
		.amdhsa_next_free_sgpr 21
		.amdhsa_reserve_vcc 1
		.amdhsa_reserve_flat_scratch 0
		.amdhsa_float_round_mode_32 0
		.amdhsa_float_round_mode_16_64 0
		.amdhsa_float_denorm_mode_32 3
		.amdhsa_float_denorm_mode_16_64 3
		.amdhsa_dx10_clamp 1
		.amdhsa_ieee_mode 1
		.amdhsa_fp16_overflow 0
		.amdhsa_workgroup_processor_mode 1
		.amdhsa_memory_ordered 1
		.amdhsa_forward_progress 0
		.amdhsa_shared_vgpr_count 0
		.amdhsa_exception_fp_ieee_invalid_op 0
		.amdhsa_exception_fp_denorm_src 0
		.amdhsa_exception_fp_ieee_div_zero 0
		.amdhsa_exception_fp_ieee_overflow 0
		.amdhsa_exception_fp_ieee_underflow 0
		.amdhsa_exception_fp_ieee_inexact 0
		.amdhsa_exception_int_div_zero 0
	.end_amdhsa_kernel
	.text
.Lfunc_end0:
	.size	fft_rtc_back_len320_factors_10_4_4_2_wgs_64_tpt_16_halfLds_half_ip_CI_unitstride_sbrr_R2C_dirReg, .Lfunc_end0-fft_rtc_back_len320_factors_10_4_4_2_wgs_64_tpt_16_halfLds_half_ip_CI_unitstride_sbrr_R2C_dirReg
                                        ; -- End function
	.section	.AMDGPU.csdata,"",@progbits
; Kernel info:
; codeLenInByte = 11040
; NumSgprs: 23
; NumVgprs: 94
; ScratchSize: 0
; MemoryBound: 0
; FloatMode: 240
; IeeeMode: 1
; LDSByteSize: 0 bytes/workgroup (compile time only)
; SGPRBlocks: 2
; VGPRBlocks: 11
; NumSGPRsForWavesPerEU: 23
; NumVGPRsForWavesPerEU: 94
; Occupancy: 10
; WaveLimiterHint : 1
; COMPUTE_PGM_RSRC2:SCRATCH_EN: 0
; COMPUTE_PGM_RSRC2:USER_SGPR: 6
; COMPUTE_PGM_RSRC2:TRAP_HANDLER: 0
; COMPUTE_PGM_RSRC2:TGID_X_EN: 1
; COMPUTE_PGM_RSRC2:TGID_Y_EN: 0
; COMPUTE_PGM_RSRC2:TGID_Z_EN: 0
; COMPUTE_PGM_RSRC2:TIDIG_COMP_CNT: 0
	.text
	.p2alignl 6, 3214868480
	.fill 48, 4, 3214868480
	.type	__hip_cuid_7ca6020634e2aead,@object ; @__hip_cuid_7ca6020634e2aead
	.section	.bss,"aw",@nobits
	.globl	__hip_cuid_7ca6020634e2aead
__hip_cuid_7ca6020634e2aead:
	.byte	0                               ; 0x0
	.size	__hip_cuid_7ca6020634e2aead, 1

	.ident	"AMD clang version 19.0.0git (https://github.com/RadeonOpenCompute/llvm-project roc-6.4.0 25133 c7fe45cf4b819c5991fe208aaa96edf142730f1d)"
	.section	".note.GNU-stack","",@progbits
	.addrsig
	.addrsig_sym __hip_cuid_7ca6020634e2aead
	.amdgpu_metadata
---
amdhsa.kernels:
  - .args:
      - .actual_access:  read_only
        .address_space:  global
        .offset:         0
        .size:           8
        .value_kind:     global_buffer
      - .offset:         8
        .size:           8
        .value_kind:     by_value
      - .actual_access:  read_only
        .address_space:  global
        .offset:         16
        .size:           8
        .value_kind:     global_buffer
      - .actual_access:  read_only
        .address_space:  global
        .offset:         24
        .size:           8
        .value_kind:     global_buffer
      - .offset:         32
        .size:           8
        .value_kind:     by_value
      - .actual_access:  read_only
        .address_space:  global
        .offset:         40
        .size:           8
        .value_kind:     global_buffer
      - .actual_access:  read_only
        .address_space:  global
        .offset:         48
        .size:           8
        .value_kind:     global_buffer
      - .offset:         56
        .size:           4
        .value_kind:     by_value
      - .actual_access:  read_only
        .address_space:  global
        .offset:         64
        .size:           8
        .value_kind:     global_buffer
      - .actual_access:  read_only
        .address_space:  global
        .offset:         72
        .size:           8
        .value_kind:     global_buffer
      - .address_space:  global
        .offset:         80
        .size:           8
        .value_kind:     global_buffer
    .group_segment_fixed_size: 0
    .kernarg_segment_align: 8
    .kernarg_segment_size: 88
    .language:       OpenCL C
    .language_version:
      - 2
      - 0
    .max_flat_workgroup_size: 64
    .name:           fft_rtc_back_len320_factors_10_4_4_2_wgs_64_tpt_16_halfLds_half_ip_CI_unitstride_sbrr_R2C_dirReg
    .private_segment_fixed_size: 0
    .sgpr_count:     23
    .sgpr_spill_count: 0
    .symbol:         fft_rtc_back_len320_factors_10_4_4_2_wgs_64_tpt_16_halfLds_half_ip_CI_unitstride_sbrr_R2C_dirReg.kd
    .uniform_work_group_size: 1
    .uses_dynamic_stack: false
    .vgpr_count:     94
    .vgpr_spill_count: 0
    .wavefront_size: 32
    .workgroup_processor_mode: 1
amdhsa.target:   amdgcn-amd-amdhsa--gfx1030
amdhsa.version:
  - 1
  - 2
...

	.end_amdgpu_metadata
